;; amdgpu-corpus repo=ROCm/rocFFT kind=compiled arch=gfx1030 opt=O3
	.text
	.amdgcn_target "amdgcn-amd-amdhsa--gfx1030"
	.amdhsa_code_object_version 6
	.protected	fft_rtc_fwd_len169_factors_13_13_wgs_156_tpt_13_half_op_CI_CI_sbrc_unaligned_dirReg ; -- Begin function fft_rtc_fwd_len169_factors_13_13_wgs_156_tpt_13_half_op_CI_CI_sbrc_unaligned_dirReg
	.globl	fft_rtc_fwd_len169_factors_13_13_wgs_156_tpt_13_half_op_CI_CI_sbrc_unaligned_dirReg
	.p2align	8
	.type	fft_rtc_fwd_len169_factors_13_13_wgs_156_tpt_13_half_op_CI_CI_sbrc_unaligned_dirReg,@function
fft_rtc_fwd_len169_factors_13_13_wgs_156_tpt_13_half_op_CI_CI_sbrc_unaligned_dirReg: ; @fft_rtc_fwd_len169_factors_13_13_wgs_156_tpt_13_half_op_CI_CI_sbrc_unaligned_dirReg
; %bb.0:
	s_clause 0x2
	s_load_dwordx8 s[8:15], s[4:5], 0x0
	s_load_dwordx2 s[24:25], s[4:5], 0x20
	s_load_dwordx4 s[16:19], s[4:5], 0x58
	s_mov_b32 s28, 0
	s_mov_b32 s26, 3
	s_mov_b64 s[30:31], 2
	s_mov_b32 s38, s28
	s_waitcnt lgkmcnt(0)
	s_load_dword s33, s[12:13], 0x8
	s_load_dwordx4 s[20:23], s[14:15], 0x0
	s_waitcnt lgkmcnt(0)
	s_add_i32 s0, s33, -1
	s_mul_hi_u32 s0, s0, 0xaaaaaaab
	s_lshr_b32 s0, s0, 3
	s_add_i32 s7, s0, 1
	v_cvt_f32_u32_e32 v1, s7
	s_sub_i32 s1, 0, s7
	v_rcp_iflag_f32_e32 v1, v1
	v_mul_f32_e32 v1, 0x4f7ffffe, v1
	v_cvt_u32_f32_e32 v1, v1
	v_readfirstlane_b32 s0, v1
	s_mul_i32 s1, s1, s0
	s_mul_hi_u32 s1, s0, s1
	s_add_i32 s0, s0, s1
	s_mul_hi_u32 s4, s6, s0
	s_load_dwordx4 s[0:3], s[24:25], 0x0
	s_mul_i32 s5, s4, s7
	s_waitcnt lgkmcnt(0)
	s_sub_i32 s3, s6, s5
	s_add_i32 s5, s4, 1
	s_sub_i32 s23, s3, s7
	s_cmp_ge_u32 s3, s7
	s_cselect_b32 s4, s5, s4
	s_cselect_b32 s3, s23, s3
	s_add_i32 s5, s4, 1
	s_cmp_ge_u32 s3, s7
	s_cselect_b32 s3, s5, s4
	v_cmp_gt_u64_e64 s4, s[10:11], 2
	s_mul_i32 s5, s3, s7
	s_sub_i32 s23, s6, s5
	s_mul_i32 s23, s23, 12
	s_and_b32 vcc_lo, exec_lo, s4
	s_mul_i32 s5, s1, s23
	s_mul_hi_u32 s27, s0, s23
	s_mul_i32 s39, s23, s22
	s_mul_i32 s4, s0, s23
	s_add_i32 s5, s27, s5
	s_cbranch_vccz .LBB0_8
.LBB0_1:                                ; =>This Inner Loop Header: Depth=1
	s_lshl_b64 s[34:35], s[30:31], 3
	s_add_u32 s30, s12, s34
	s_addc_u32 s31, s13, s35
	s_load_dwordx2 s[30:31], s[30:31], 0x0
	s_waitcnt lgkmcnt(0)
	s_mov_b32 s29, s31
	s_cmp_lg_u64 s[28:29], 0
	s_cbranch_scc0 .LBB0_6
; %bb.2:                                ;   in Loop: Header=BB0_1 Depth=1
	v_cvt_f32_u32_e32 v1, s30
	v_cvt_f32_u32_e32 v2, s31
	s_sub_u32 s36, 0, s30
	s_subb_u32 s37, 0, s31
	v_fmac_f32_e32 v1, 0x4f800000, v2
	v_rcp_f32_e32 v1, v1
	v_mul_f32_e32 v1, 0x5f7ffffc, v1
	v_mul_f32_e32 v2, 0x2f800000, v1
	v_trunc_f32_e32 v2, v2
	v_fmac_f32_e32 v1, 0xcf800000, v2
	v_cvt_u32_f32_e32 v2, v2
	v_cvt_u32_f32_e32 v1, v1
	v_readfirstlane_b32 s27, v2
	v_readfirstlane_b32 s29, v1
	s_mul_i32 s40, s36, s27
	s_mul_hi_u32 s42, s36, s29
	s_mul_i32 s41, s37, s29
	s_add_i32 s40, s42, s40
	s_mul_i32 s43, s36, s29
	s_add_i32 s40, s40, s41
	s_mul_hi_u32 s42, s29, s43
	s_mul_hi_u32 s44, s27, s43
	s_mul_i32 s41, s27, s43
	s_mul_hi_u32 s43, s29, s40
	s_mul_i32 s29, s29, s40
	s_mul_hi_u32 s45, s27, s40
	s_add_u32 s29, s42, s29
	s_addc_u32 s42, 0, s43
	s_add_u32 s29, s29, s41
	s_mul_i32 s40, s27, s40
	s_addc_u32 s29, s42, s44
	s_addc_u32 s41, s45, 0
	s_add_u32 s29, s29, s40
	s_addc_u32 s40, 0, s41
	v_add_co_u32 v1, s29, v1, s29
	s_cmp_lg_u32 s29, 0
	s_addc_u32 s27, s27, s40
	v_readfirstlane_b32 s29, v1
	s_mul_i32 s40, s36, s27
	s_mul_hi_u32 s41, s36, s29
	s_mul_i32 s37, s37, s29
	s_add_i32 s40, s41, s40
	s_mul_i32 s36, s36, s29
	s_add_i32 s40, s40, s37
	s_mul_hi_u32 s41, s27, s36
	s_mul_i32 s42, s27, s36
	s_mul_hi_u32 s36, s29, s36
	s_mul_hi_u32 s43, s29, s40
	s_mul_i32 s29, s29, s40
	s_mul_hi_u32 s37, s27, s40
	s_add_u32 s29, s36, s29
	s_addc_u32 s36, 0, s43
	s_add_u32 s29, s29, s42
	s_mul_i32 s40, s27, s40
	s_addc_u32 s29, s36, s41
	s_addc_u32 s36, s37, 0
	s_add_u32 s29, s29, s40
	s_addc_u32 s36, 0, s36
	v_add_co_u32 v1, s29, v1, s29
	s_cmp_lg_u32 s29, 0
	s_addc_u32 s27, s27, s36
	v_readfirstlane_b32 s29, v1
	s_mul_i32 s36, s3, s27
	s_mul_hi_u32 s27, s3, s27
	s_mul_hi_u32 s29, s3, s29
	s_add_u32 s29, s29, s36
	s_addc_u32 s29, 0, s27
	s_mul_i32 s27, s31, s29
	s_mul_hi_u32 s36, s30, s29
	s_mul_i32 s37, s30, s29
	s_add_i32 s36, s36, s27
	v_sub_co_u32 v1, s27, s3, s37
	s_sub_i32 s37, 0, s36
	s_cmp_lg_u32 s27, 0
	v_sub_co_u32 v2, s40, v1, s30
	s_subb_u32 s37, s37, s31
	s_cmp_lg_u32 s40, 0
	v_readfirstlane_b32 s40, v2
	s_subb_u32 s37, s37, 0
	s_cmp_ge_u32 s37, s31
	s_cselect_b32 s41, -1, 0
	s_cmp_ge_u32 s40, s30
	s_cselect_b32 s40, -1, 0
	s_cmp_eq_u32 s37, s31
	s_cselect_b32 s37, s40, s41
	s_add_u32 s40, s29, 1
	s_addc_u32 s41, 0, 0
	s_add_u32 s42, s29, 2
	s_addc_u32 s43, 0, 0
	s_cmp_lg_u32 s37, 0
	s_cselect_b32 s40, s42, s40
	s_cselect_b32 s37, s43, s41
	s_cmp_lg_u32 s27, 0
	v_readfirstlane_b32 s27, v1
	s_subb_u32 s36, 0, s36
	s_cmp_ge_u32 s36, s31
	s_cselect_b32 s41, -1, 0
	s_cmp_ge_u32 s27, s30
	s_cselect_b32 s27, -1, 0
	s_cmp_eq_u32 s36, s31
	s_cselect_b32 s27, s27, s41
	s_cmp_lg_u32 s27, 0
	s_cselect_b32 s37, s37, 0
	s_cselect_b32 s36, s40, s29
	s_cbranch_execnz .LBB0_4
.LBB0_3:                                ;   in Loop: Header=BB0_1 Depth=1
	v_cvt_f32_u32_e32 v1, s30
	s_sub_i32 s29, 0, s30
	v_rcp_iflag_f32_e32 v1, v1
	v_mul_f32_e32 v1, 0x4f7ffffe, v1
	v_cvt_u32_f32_e32 v1, v1
	v_readfirstlane_b32 s27, v1
	s_mul_i32 s29, s29, s27
	s_mul_hi_u32 s29, s27, s29
	s_add_i32 s27, s27, s29
	s_mul_hi_u32 s27, s3, s27
	s_mul_i32 s29, s27, s30
	s_add_i32 s36, s27, 1
	s_sub_i32 s29, s3, s29
	s_sub_i32 s37, s29, s30
	s_cmp_ge_u32 s29, s30
	s_cselect_b32 s27, s36, s27
	s_cselect_b32 s29, s37, s29
	s_add_i32 s36, s27, 1
	s_cmp_ge_u32 s29, s30
	s_mov_b32 s37, s28
	s_cselect_b32 s36, s36, s27
.LBB0_4:                                ;   in Loop: Header=BB0_1 Depth=1
	s_mul_i32 s27, s36, s31
	s_mul_hi_u32 s29, s36, s30
	s_mul_i32 s31, s36, s30
	s_add_i32 s27, s29, s27
	s_mul_i32 s29, s37, s30
	s_mul_i32 s7, s7, s30
	s_add_i32 s27, s27, s29
	s_sub_u32 s3, s3, s31
	s_subb_u32 s29, 0, s27
	s_add_u32 s40, s14, s34
	s_addc_u32 s41, s15, s35
	s_load_dwordx2 s[40:41], s[40:41], 0x0
	s_waitcnt lgkmcnt(0)
	s_mul_i32 s27, s40, s29
	s_mul_hi_u32 s31, s40, s3
	s_mul_i32 s37, s41, s3
	s_add_i32 s27, s31, s27
	s_mul_i32 s31, s40, s3
	s_add_i32 s27, s27, s37
	s_add_u32 s39, s31, s39
	s_addc_u32 s38, s27, s38
	s_add_u32 s34, s24, s34
	s_addc_u32 s35, s25, s35
	s_mov_b32 s27, s28
	s_load_dwordx2 s[34:35], s[34:35], 0x0
	s_mov_b64 s[30:31], s[26:27]
	v_cmp_ge_u64_e64 s27, s[26:27], s[10:11]
	s_waitcnt lgkmcnt(0)
	s_mul_i32 s29, s34, s29
	s_mul_hi_u32 s37, s34, s3
	s_mul_i32 s35, s35, s3
	s_add_i32 s29, s37, s29
	s_mul_i32 s3, s34, s3
	s_add_i32 s29, s29, s35
	s_add_u32 s4, s3, s4
	s_addc_u32 s5, s29, s5
	s_and_b32 vcc_lo, exec_lo, s27
	s_add_i32 s26, s26, 1
	s_cbranch_vccnz .LBB0_7
; %bb.5:                                ;   in Loop: Header=BB0_1 Depth=1
	s_mov_b32 s3, s36
	s_branch .LBB0_1
.LBB0_6:                                ;   in Loop: Header=BB0_1 Depth=1
                                        ; implicit-def: $sgpr36_sgpr37
	s_branch .LBB0_3
.LBB0_7:
	v_cvt_f32_u32_e32 v1, s7
	s_sub_i32 s12, 0, s7
	v_rcp_iflag_f32_e32 v1, v1
	v_mul_f32_e32 v1, 0x4f7ffffe, v1
	v_cvt_u32_f32_e32 v1, v1
	v_readfirstlane_b32 s3, v1
	s_mul_i32 s12, s12, s3
	s_mul_hi_u32 s12, s3, s12
	s_add_i32 s3, s3, s12
	s_mul_hi_u32 s3, s6, s3
	s_mul_i32 s12, s3, s7
	s_sub_i32 s6, s6, s12
	s_add_i32 s12, s3, 1
	s_sub_i32 s13, s6, s7
	s_cmp_ge_u32 s6, s7
	s_cselect_b32 s3, s12, s3
	s_cselect_b32 s6, s13, s6
	s_add_i32 s12, s3, 1
	s_cmp_ge_u32 s6, s7
	s_cselect_b32 s3, s12, s3
.LBB0_8:
	s_lshl_b64 s[6:7], s[10:11], 3
	s_mov_b32 s13, 0
	s_add_u32 s10, s14, s6
	s_addc_u32 s11, s15, s7
	s_mov_b32 s14, -1
	s_load_dwordx2 s[10:11], s[10:11], 0x0
	s_waitcnt lgkmcnt(0)
	s_mul_i32 s11, s11, s3
	s_mul_hi_u32 s12, s10, s3
	s_mul_i32 s10, s10, s3
	s_add_i32 s12, s12, s11
	s_add_u32 s10, s10, s39
	s_addc_u32 s11, s12, s38
	s_add_u32 s6, s24, s6
	s_addc_u32 s7, s25, s7
	s_add_i32 s12, s23, 12
	s_load_dwordx2 s[6:7], s[6:7], 0x0
	s_cmp_le_u32 s12, s33
	s_cselect_b32 s12, -1, 0
	s_and_b32 vcc_lo, exec_lo, s12
	s_cbranch_vccnz .LBB0_12
; %bb.9:
	s_lshl_b64 s[14:15], s[10:11], 2
	v_mov_b32_e32 v2, 0
	v_mov_b32_e32 v3, 0xc1e5
	;; [unrolled: 1-line block ×3, first 2 shown]
	s_add_u32 s14, s16, s14
	s_addc_u32 s15, s17, s15
	s_inst_prefetch 0x1
	.p2align	6
.LBB0_10:                               ; =>This Inner Loop Header: Depth=1
	v_mul_u32_u24_sdwa v1, v4, v3 dst_sel:DWORD dst_unused:UNUSED_PAD src0_sel:WORD_0 src1_sel:DWORD
	v_lshrrev_b32_e32 v9, 23, v1
	v_mul_lo_u16 v1, 0xa9, v9
	v_sub_nc_u16 v10, v4, v1
	v_add_nc_u32_e32 v4, 0x9c, v4
	v_and_b32_e32 v7, 0xffff, v10
	v_mad_u64_u32 v[5:6], null, s20, v7, 0
	v_mov_b32_e32 v1, v6
	v_mad_u64_u32 v[6:7], null, s21, v7, v[1:2]
	v_mul_lo_u32 v1, s22, v9
	v_lshlrev_b64 v[5:6], 2, v[5:6]
	v_lshlrev_b64 v[7:8], 2, v[1:2]
	v_add_co_u32 v1, vcc_lo, s14, v5
	v_add_co_ci_u32_e32 v6, vcc_lo, s15, v6, vcc_lo
	v_add_co_u32 v5, vcc_lo, v1, v7
	v_add_co_ci_u32_e32 v6, vcc_lo, v6, v8, vcc_lo
	v_cmp_lt_u32_e32 vcc_lo, 0x7eb, v4
	global_load_dword v1, v[5:6], off
	v_mad_u16 v5, v10, 12, v9
	s_or_b32 s13, vcc_lo, s13
	v_and_b32_e32 v5, 0xffff, v5
	v_lshl_add_u32 v5, v5, 2, 0
	s_waitcnt vmcnt(0)
	ds_write_b32 v5, v1
	s_andn2_b32 exec_lo, exec_lo, s13
	s_cbranch_execnz .LBB0_10
; %bb.11:
	s_inst_prefetch 0x2
	s_or_b32 exec_lo, exec_lo, s13
	s_mov_b32 s14, 0
.LBB0_12:
	s_and_b32 vcc_lo, exec_lo, s14
	s_cbranch_vccz .LBB0_14
; %bb.13:
	v_mov_b32_e32 v13, 0x184
	v_add_nc_u16 v1, v0, 0x9c
	v_add_nc_u16 v3, v0, 0x138
	;; [unrolled: 1-line block ×4, first 2 shown]
	v_mul_u32_u24_sdwa v2, v0, v13 dst_sel:DWORD dst_unused:UNUSED_PAD src0_sel:WORD_0 src1_sel:DWORD
	v_mul_u32_u24_sdwa v4, v1, v13 dst_sel:DWORD dst_unused:UNUSED_PAD src0_sel:WORD_0 src1_sel:DWORD
	s_lshl_b64 s[10:11], s[10:11], 2
	v_mov_b32_e32 v35, 0xc1f
	s_add_u32 s10, s16, s10
	v_lshrrev_b32_e32 v26, 16, v2
	v_mul_u32_u24_sdwa v2, v3, v13 dst_sel:DWORD dst_unused:UNUSED_PAD src0_sel:WORD_0 src1_sel:DWORD
	v_lshrrev_b32_e32 v27, 16, v4
	v_mul_u32_u24_sdwa v17, v15, v13 dst_sel:DWORD dst_unused:UNUSED_PAD src0_sel:WORD_0 src1_sel:DWORD
	s_addc_u32 s11, s17, s11
	v_mul_lo_u16 v4, 0xa9, v26
	v_lshrrev_b32_e32 v28, 16, v2
	v_mul_lo_u16 v5, 0xa9, v27
	v_mov_b32_e32 v2, 0
	v_lshrrev_b32_e32 v34, 16, v17
	v_sub_nc_u16 v29, v0, v4
	v_mul_lo_u16 v4, 0xa9, v28
	v_sub_nc_u16 v30, v1, v5
	v_mul_u32_u24_sdwa v1, v11, v13 dst_sel:DWORD dst_unused:UNUSED_PAD src0_sel:WORD_0 src1_sel:DWORD
	v_add_nc_u16 v18, v0, 0x3a8
	v_and_b32_e32 v9, 0xffff, v29
	v_sub_nc_u16 v31, v3, v4
	v_and_b32_e32 v12, 0xffff, v30
	v_lshrrev_b32_e32 v32, 16, v1
	v_mul_lo_u32 v1, s22, v26
	v_mad_u64_u32 v[3:4], null, s20, v9, 0
	v_and_b32_e32 v14, 0xffff, v31
	v_mad_u64_u32 v[5:6], null, s20, v12, 0
	v_mul_lo_u16 v16, 0xa9, v32
	v_add_nc_u16 v20, v0, 0x444
	v_mad_u64_u32 v[7:8], null, s20, v14, 0
	v_add_nc_u16 v23, v0, 0x4e0
	v_sub_nc_u16 v33, v11, v16
	v_mad_u64_u32 v[9:10], null, s21, v9, v[4:5]
	v_add_nc_u16 v45, v0, 0x57c
	v_mad_u64_u32 v[10:11], null, s21, v12, v[6:7]
	v_lshlrev_b64 v[11:12], 2, v[1:2]
	v_mul_lo_u32 v1, s22, v27
	v_mov_b32_e32 v4, v9
	v_mad_u64_u32 v[8:9], null, s21, v14, v[8:9]
	v_and_b32_e32 v16, 0xffff, v33
	v_mov_b32_e32 v6, v10
	v_lshlrev_b64 v[3:4], 2, v[3:4]
	v_mul_u32_u24_sdwa v25, v45, v35 dst_sel:DWORD dst_unused:UNUSED_PAD src0_sel:WORD_0 src1_sel:DWORD
	v_lshlrev_b64 v[13:14], 2, v[1:2]
	v_mad_u64_u32 v[9:10], null, s20, v16, 0
	v_lshlrev_b64 v[5:6], 2, v[5:6]
	v_add_co_u32 v1, vcc_lo, s10, v3
	v_add_co_ci_u32_e32 v4, vcc_lo, s11, v4, vcc_lo
	v_lshlrev_b64 v[7:8], 2, v[7:8]
	v_add_co_u32 v5, vcc_lo, s10, v5
	v_add_co_ci_u32_e32 v6, vcc_lo, s11, v6, vcc_lo
	v_add_co_u32 v3, vcc_lo, v1, v11
	v_add_co_ci_u32_e32 v4, vcc_lo, v4, v12, vcc_lo
	v_mul_lo_u32 v1, s22, v28
	v_add_co_u32 v5, vcc_lo, v5, v13
	v_mul_lo_u16 v13, 0xa9, v34
	v_add_co_ci_u32_e32 v6, vcc_lo, v6, v14, vcc_lo
	v_add_nc_u16 v14, v0, 0x30c
	v_mad_u64_u32 v[10:11], null, s21, v16, v[10:11]
	v_sub_nc_u16 v36, v15, v13
	v_lshlrev_b64 v[11:12], 2, v[1:2]
	v_add_co_u32 v7, vcc_lo, s10, v7
	v_mul_u32_u24_sdwa v1, v14, v35 dst_sel:DWORD dst_unused:UNUSED_PAD src0_sel:WORD_0 src1_sel:DWORD
	v_add_co_ci_u32_e32 v8, vcc_lo, s11, v8, vcc_lo
	v_and_b32_e32 v15, 0xffff, v36
	v_add_co_u32 v7, vcc_lo, v7, v11
	v_lshrrev_b32_e32 v37, 19, v1
	v_add_co_ci_u32_e32 v8, vcc_lo, v8, v12, vcc_lo
	v_mad_u64_u32 v[11:12], null, s20, v15, 0
	v_lshlrev_b64 v[9:10], 2, v[9:10]
	v_mul_lo_u16 v13, 0xa9, v37
	v_mul_lo_u32 v1, s22, v32
	v_lshrrev_b32_e32 v46, 19, v25
	v_add_co_u32 v16, vcc_lo, s10, v9
	v_mov_b32_e32 v9, v12
	v_sub_nc_u16 v38, v14, v13
	v_add_co_ci_u32_e32 v17, vcc_lo, s11, v10, vcc_lo
	v_lshlrev_b64 v[12:13], 2, v[1:2]
	v_mad_u64_u32 v[9:10], null, s21, v15, v[9:10]
	v_and_b32_e32 v19, 0xffff, v38
	v_mul_u32_u24_sdwa v1, v18, v35 dst_sel:DWORD dst_unused:UNUSED_PAD src0_sel:WORD_0 src1_sel:DWORD
	v_add_co_u32 v16, vcc_lo, v16, v12
	v_mad_u64_u32 v[14:15], null, s20, v19, 0
	v_mov_b32_e32 v12, v9
	v_lshrrev_b32_e32 v39, 19, v1
	v_add_co_ci_u32_e32 v17, vcc_lo, v17, v13, vcc_lo
	v_mul_lo_u32 v1, s22, v34
	v_lshlrev_b64 v[10:11], 2, v[11:12]
	v_mov_b32_e32 v9, v15
	v_mul_lo_u16 v15, 0xa9, v39
	v_mad_u64_u32 v[12:13], null, s21, v19, v[9:10]
	v_mul_u32_u24_sdwa v13, v20, v35 dst_sel:DWORD dst_unused:UNUSED_PAD src0_sel:WORD_0 src1_sel:DWORD
	v_sub_nc_u16 v40, v18, v15
	v_add_co_u32 v18, vcc_lo, s10, v10
	v_lshlrev_b64 v[9:10], 2, v[1:2]
	v_lshrrev_b32_e32 v41, 19, v13
	v_and_b32_e32 v21, 0xffff, v40
	v_mov_b32_e32 v15, v12
	v_mul_lo_u32 v1, s22, v37
	v_add_co_ci_u32_e32 v19, vcc_lo, s11, v11, vcc_lo
	v_mul_lo_u16 v13, 0xa9, v41
	v_mad_u64_u32 v[11:12], null, s20, v21, 0
	v_add_co_u32 v9, vcc_lo, v18, v9
	v_sub_nc_u16 v42, v20, v13
	v_lshlrev_b64 v[13:14], 2, v[14:15]
	v_add_co_ci_u32_e32 v10, vcc_lo, v19, v10, vcc_lo
	v_lshlrev_b64 v[18:19], 2, v[1:2]
	v_mul_u32_u24_sdwa v1, v23, v35 dst_sel:DWORD dst_unused:UNUSED_PAD src0_sel:WORD_0 src1_sel:DWORD
	v_and_b32_e32 v24, 0xffff, v42
	v_mad_u64_u32 v[20:21], null, s21, v21, v[12:13]
	v_lshrrev_b32_e32 v43, 19, v1
	v_mad_u64_u32 v[21:22], null, s20, v24, 0
	v_add_co_u32 v1, vcc_lo, s10, v13
	v_mov_b32_e32 v12, v20
	v_mul_lo_u16 v20, 0xa9, v43
	v_add_co_ci_u32_e32 v14, vcc_lo, s11, v14, vcc_lo
	v_mov_b32_e32 v15, v22
	v_add_co_u32 v13, vcc_lo, v1, v18
	v_sub_nc_u16 v44, v23, v20
	v_mul_lo_u32 v1, s22, v39
	v_lshlrev_b64 v[11:12], 2, v[11:12]
	v_add_co_ci_u32_e32 v14, vcc_lo, v14, v19, vcc_lo
	v_mad_u64_u32 v[18:19], null, s21, v24, v[15:16]
	v_and_b32_e32 v24, 0xffff, v44
	v_add_co_u32 v15, vcc_lo, s10, v11
	v_add_co_ci_u32_e32 v23, vcc_lo, s11, v12, vcc_lo
	v_mad_u64_u32 v[19:20], null, s20, v24, 0
	v_lshlrev_b64 v[11:12], 2, v[1:2]
	v_mov_b32_e32 v22, v18
	v_mul_lo_u32 v1, s22, v41
	v_mul_lo_u16 v18, 0xa9, v46
	v_add_co_u32 v11, vcc_lo, v15, v11
	v_mov_b32_e32 v15, v20
	v_lshlrev_b64 v[20:21], 2, v[21:22]
	v_add_co_ci_u32_e32 v12, vcc_lo, v23, v12, vcc_lo
	v_lshlrev_b64 v[22:23], 2, v[1:2]
	v_mad_u64_u32 v[24:25], null, s21, v24, v[15:16]
	v_sub_nc_u16 v25, v45, v18
	v_add_co_u32 v1, vcc_lo, s10, v20
	v_add_nc_u16 v45, v0, 0x618
	v_add_co_ci_u32_e32 v15, vcc_lo, s11, v21, vcc_lo
	v_and_b32_e32 v18, 0xffff, v25
	v_add_co_u32 v21, vcc_lo, v1, v22
	v_mul_u32_u24_sdwa v1, v45, v35 dst_sel:DWORD dst_unused:UNUSED_PAD src0_sel:WORD_0 src1_sel:DWORD
	v_add_co_ci_u32_e32 v22, vcc_lo, v15, v23, vcc_lo
	v_mov_b32_e32 v20, v24
	v_mad_u64_u32 v[23:24], null, s20, v18, 0
	s_clause 0x7
	global_load_dword v47, v[3:4], off
	global_load_dword v48, v[5:6], off
	;; [unrolled: 1-line block ×8, first 2 shown]
	v_lshrrev_b32_e32 v22, 19, v1
	v_add_nc_u16 v7, v0, 0x6b4
	v_add_nc_u16 v10, v0, 0x750
	v_mul_lo_u32 v1, s22, v43
	v_lshlrev_b64 v[3:4], 2, v[19:20]
	v_mov_b32_e32 v5, v24
	v_mul_lo_u16 v8, 0xa9, v22
	v_mul_u32_u24_sdwa v9, v7, v35 dst_sel:DWORD dst_unused:UNUSED_PAD src0_sel:WORD_0 src1_sel:DWORD
	v_mad_u64_u32 v[5:6], null, s21, v18, v[5:6]
	v_sub_nc_u16 v20, v45, v8
	v_lshrrev_b32_e32 v45, 19, v9
	v_mul_u32_u24_sdwa v6, v10, v35 dst_sel:DWORD dst_unused:UNUSED_PAD src0_sel:WORD_0 src1_sel:DWORD
	v_add_co_u32 v8, vcc_lo, s10, v3
	v_add_co_ci_u32_e32 v9, vcc_lo, s11, v4, vcc_lo
	v_lshlrev_b64 v[3:4], 2, v[1:2]
	v_mul_lo_u16 v1, 0xa9, v45
	v_lshrrev_b32_e32 v35, 19, v6
	v_and_b32_e32 v11, 0xffff, v20
	v_mov_b32_e32 v24, v5
	v_sub_nc_u16 v54, v7, v1
	v_mul_lo_u16 v1, 0xa9, v35
	v_mad_u64_u32 v[5:6], null, s20, v11, 0
	v_add_co_u32 v3, vcc_lo, v8, v3
	v_and_b32_e32 v16, 0xffff, v54
	v_sub_nc_u16 v55, v10, v1
	v_lshlrev_b64 v[7:8], 2, v[23:24]
	v_add_co_ci_u32_e32 v4, vcc_lo, v9, v4, vcc_lo
	v_mad_u64_u32 v[9:10], null, s20, v16, 0
	v_and_b32_e32 v18, 0xffff, v55
	v_mul_lo_u32 v1, s22, v46
	v_mad_u64_u32 v[11:12], null, s21, v11, v[6:7]
	v_add_co_u32 v17, vcc_lo, s10, v7
	v_mad_u64_u32 v[12:13], null, s20, v18, 0
	v_mov_b32_e32 v7, v10
	v_lshlrev_b64 v[14:15], 2, v[1:2]
	v_add_co_ci_u32_e32 v19, vcc_lo, s11, v8, vcc_lo
	v_mul_lo_u32 v1, s22, v22
	v_mad_u64_u32 v[7:8], null, s21, v16, v[7:8]
	v_mov_b32_e32 v8, v13
	v_mov_b32_e32 v6, v11
	v_add_co_u32 v14, vcc_lo, v17, v14
	v_add_co_ci_u32_e32 v15, vcc_lo, v19, v15, vcc_lo
	v_mad_u64_u32 v[18:19], null, s21, v18, v[8:9]
	v_lshlrev_b64 v[5:6], 2, v[5:6]
	v_lshlrev_b64 v[16:17], 2, v[1:2]
	v_mul_lo_u32 v1, s22, v45
	v_mov_b32_e32 v10, v7
	v_add_co_u32 v7, vcc_lo, s10, v5
	v_mov_b32_e32 v13, v18
	v_add_co_ci_u32_e32 v8, vcc_lo, s11, v6, vcc_lo
	v_lshlrev_b64 v[5:6], 2, v[9:10]
	v_lshlrev_b64 v[9:10], 2, v[1:2]
	v_mul_lo_u32 v1, s22, v35
	v_add_co_u32 v7, vcc_lo, v7, v16
	v_lshlrev_b64 v[11:12], 2, v[12:13]
	v_add_co_ci_u32_e32 v8, vcc_lo, v8, v17, vcc_lo
	v_add_co_u32 v5, vcc_lo, s10, v5
	v_add_co_ci_u32_e32 v6, vcc_lo, s11, v6, vcc_lo
	v_add_co_u32 v11, vcc_lo, s10, v11
	v_lshlrev_b64 v[1:2], 2, v[1:2]
	v_add_co_ci_u32_e32 v12, vcc_lo, s11, v12, vcc_lo
	v_add_co_u32 v5, vcc_lo, v5, v9
	v_add_co_ci_u32_e32 v6, vcc_lo, v6, v10, vcc_lo
	v_add_co_u32 v1, vcc_lo, v11, v1
	v_add_co_ci_u32_e32 v2, vcc_lo, v12, v2, vcc_lo
	s_clause 0x4
	global_load_dword v3, v[3:4], off
	global_load_dword v4, v[14:15], off
	;; [unrolled: 1-line block ×5, first 2 shown]
	v_mul_lo_u16 v2, v29, 12
	v_mul_lo_u16 v6, v30, 12
	v_mad_u16 v8, v31, 12, v28
	v_mad_u16 v9, v40, 12, v39
	;; [unrolled: 1-line block ×3, first 2 shown]
	v_or_b32_e32 v2, v2, v26
	v_or_b32_e32 v6, v6, v27
	v_and_b32_e32 v8, 0xffff, v8
	v_and_b32_e32 v9, 0xffff, v9
	;; [unrolled: 1-line block ×5, first 2 shown]
	v_lshl_add_u32 v8, v8, 2, 0
	v_lshl_add_u32 v9, v9, 2, 0
	;; [unrolled: 1-line block ×5, first 2 shown]
	s_waitcnt vmcnt(12)
	ds_write_b32 v2, v47
	s_waitcnt vmcnt(11)
	ds_write_b32 v6, v48
	;; [unrolled: 2-line block ×3, first 2 shown]
	v_mad_u16 v2, v33, 12, v32
	v_mad_u16 v6, v36, 12, v34
	;; [unrolled: 1-line block ×3, first 2 shown]
	v_and_b32_e32 v2, 0xffff, v2
	v_and_b32_e32 v6, 0xffff, v6
	;; [unrolled: 1-line block ×3, first 2 shown]
	v_lshl_add_u32 v2, v2, 2, 0
	v_lshl_add_u32 v6, v6, 2, 0
	;; [unrolled: 1-line block ×3, first 2 shown]
	s_waitcnt vmcnt(9)
	ds_write_b32 v2, v50
	s_waitcnt vmcnt(8)
	ds_write_b32 v6, v51
	;; [unrolled: 2-line block ×5, first 2 shown]
	v_mad_u16 v2, v44, 12, v43
	v_mad_u16 v6, v25, 12, v46
	;; [unrolled: 1-line block ×5, first 2 shown]
	v_and_b32_e32 v2, 0xffff, v2
	v_and_b32_e32 v6, 0xffff, v6
	;; [unrolled: 1-line block ×5, first 2 shown]
	v_lshl_add_u32 v2, v2, 2, 0
	v_lshl_add_u32 v6, v6, 2, 0
	;; [unrolled: 1-line block ×5, first 2 shown]
	s_waitcnt vmcnt(4)
	ds_write_b32 v2, v3
	s_waitcnt vmcnt(3)
	ds_write_b32 v6, v4
	;; [unrolled: 2-line block ×5, first 2 shown]
.LBB0_14:
	v_mov_b32_e32 v1, 0x1556
	v_mul_hi_u32 v14, 0x15555556, v0
	s_waitcnt lgkmcnt(0)
	s_barrier
	buffer_gl0_inv
	v_mul_u32_u24_sdwa v1, v0, v1 dst_sel:DWORD dst_unused:UNUSED_PAD src0_sel:WORD_0 src1_sel:DWORD
	v_lshrrev_b32_e32 v1, 16, v1
	v_mul_lo_u16 v1, v1, 12
	v_sub_nc_u16 v1, v0, v1
	v_and_b32_e32 v7, 0xffff, v1
	v_mul_u32_u24_e32 v1, 48, v14
	v_lshlrev_b32_e32 v2, 2, v7
	v_add3_u32 v8, 0, v1, v2
	ds_read2_b32 v[15:16], v8 offset1:156
	v_add_nc_u32_e32 v9, 0x400, v8
	v_add_nc_u32_e32 v11, 0x900, v8
	;; [unrolled: 1-line block ×3, first 2 shown]
	ds_read_b32 v21, v8 offset:7488
	ds_read2_b32 v[17:18], v9 offset0:56 offset1:212
	v_add_nc_u32_e32 v12, 0x1200, v8
	v_add_nc_u32_e32 v10, 0x1800, v8
	ds_read2_b32 v[3:4], v11 offset0:48 offset1:204
	ds_read2_b32 v[1:2], v13 offset0:40 offset1:196
	;; [unrolled: 1-line block ×4, first 2 shown]
	s_waitcnt lgkmcnt(0)
	s_barrier
	buffer_gl0_inv
	v_add_f16_e32 v22, v16, v15
	v_add_f16_sdwa v23, v16, v15 dst_sel:DWORD dst_unused:UNUSED_PAD src0_sel:WORD_1 src1_sel:WORD_1
	v_sub_f16_sdwa v25, v16, v21 dst_sel:DWORD dst_unused:UNUSED_PAD src0_sel:WORD_1 src1_sel:WORD_1
	v_add_f16_e32 v22, v22, v17
	v_add_f16_sdwa v23, v23, v17 dst_sel:DWORD dst_unused:UNUSED_PAD src0_sel:DWORD src1_sel:WORD_1
	v_add_f16_e32 v24, v21, v16
	v_sub_f16_e32 v26, v16, v21
	v_mul_f16_e32 v27, 0xb770, v25
	v_add_f16_e32 v22, v22, v18
	v_add_f16_sdwa v23, v23, v18 dst_sel:DWORD dst_unused:UNUSED_PAD src0_sel:DWORD src1_sel:WORD_1
	v_mul_f16_e32 v29, 0xba95, v25
	v_mul_f16_e32 v31, 0xbbf1, v25
	;; [unrolled: 1-line block ×3, first 2 shown]
	v_add_f16_e32 v22, v22, v3
	v_add_f16_sdwa v23, v23, v3 dst_sel:DWORD dst_unused:UNUSED_PAD src0_sel:DWORD src1_sel:WORD_1
	v_mul_f16_e32 v35, 0xb94e, v25
	v_mul_f16_e32 v25, 0xb3a8, v25
	v_add_f16_e32 v37, v20, v17
	v_add_f16_e32 v22, v22, v4
	v_add_f16_sdwa v23, v23, v4 dst_sel:DWORD dst_unused:UNUSED_PAD src0_sel:DWORD src1_sel:WORD_1
	v_add_f16_sdwa v38, v20, v17 dst_sel:DWORD dst_unused:UNUSED_PAD src0_sel:WORD_1 src1_sel:WORD_1
	v_sub_f16_e32 v39, v17, v20
	v_sub_f16_sdwa v17, v17, v20 dst_sel:DWORD dst_unused:UNUSED_PAD src0_sel:WORD_1 src1_sel:WORD_1
	v_add_f16_e32 v22, v22, v1
	v_add_f16_sdwa v23, v23, v1 dst_sel:DWORD dst_unused:UNUSED_PAD src0_sel:DWORD src1_sel:WORD_1
	v_add_f16_sdwa v16, v21, v16 dst_sel:DWORD dst_unused:UNUSED_PAD src0_sel:WORD_1 src1_sel:WORD_1
	v_mul_f16_e32 v28, 0xb770, v26
	v_mul_f16_e32 v30, 0xba95, v26
	v_add_f16_e32 v22, v22, v2
	v_add_f16_sdwa v23, v23, v2 dst_sel:DWORD dst_unused:UNUSED_PAD src0_sel:DWORD src1_sel:WORD_1
	v_mul_f16_e32 v32, 0xbbf1, v26
	v_mul_f16_e32 v34, 0xbb7b, v26
	;; [unrolled: 1-line block ×3, first 2 shown]
	v_add_f16_e32 v22, v22, v5
	v_add_f16_sdwa v23, v23, v5 dst_sel:DWORD dst_unused:UNUSED_PAD src0_sel:DWORD src1_sel:WORD_1
	v_mul_f16_e32 v26, 0xb3a8, v26
	v_fma_f16 v40, v24, 0x3b15, -v27
	v_fmac_f16_e32 v27, 0x3b15, v24
	v_add_f16_e32 v22, v22, v6
	v_add_f16_sdwa v23, v23, v6 dst_sel:DWORD dst_unused:UNUSED_PAD src0_sel:DWORD src1_sel:WORD_1
	v_fma_f16 v42, v24, 0x388b, -v29
	v_fmac_f16_e32 v29, 0x388b, v24
	v_fma_f16 v44, v24, 0x2fb7, -v31
	v_add_f16_e32 v22, v22, v19
	v_add_f16_sdwa v23, v23, v19 dst_sel:DWORD dst_unused:UNUSED_PAD src0_sel:DWORD src1_sel:WORD_1
	v_fmac_f16_e32 v31, 0x2fb7, v24
	v_fma_f16 v46, v24, 0xb5ac, -v33
	v_fmac_f16_e32 v33, 0xb5ac, v24
	v_fma_f16 v48, v24, 0xb9fd, -v35
	;; [unrolled: 2-line block ×3, first 2 shown]
	v_fmac_f16_e32 v25, 0xbbc4, v24
	v_mul_f16_e32 v24, 0xba95, v17
	v_add_f16_e32 v22, v22, v20
	v_add_f16_sdwa v20, v23, v20 dst_sel:DWORD dst_unused:UNUSED_PAD src0_sel:DWORD src1_sel:WORD_1
	v_fmamk_f16 v41, v16, 0x3b15, v28
	v_fma_f16 v28, v16, 0x3b15, -v28
	v_fmamk_f16 v43, v16, 0x388b, v30
	v_fma_f16 v30, v16, 0x388b, -v30
	;; [unrolled: 2-line block ×6, first 2 shown]
	v_mul_f16_e32 v26, 0xba95, v39
	v_add_f16_e32 v40, v40, v15
	v_add_f16_e32 v22, v22, v21
	v_add_f16_sdwa v20, v20, v21 dst_sel:WORD_1 dst_unused:UNUSED_PAD src0_sel:DWORD src1_sel:WORD_1
	v_fma_f16 v21, v37, 0x388b, -v24
	v_add_f16_sdwa v41, v41, v15 dst_sel:DWORD dst_unused:UNUSED_PAD src0_sel:DWORD src1_sel:WORD_1
	v_add_f16_e32 v27, v27, v15
	v_add_f16_sdwa v28, v28, v15 dst_sel:DWORD dst_unused:UNUSED_PAD src0_sel:DWORD src1_sel:WORD_1
	v_add_f16_e32 v42, v42, v15
	;; [unrolled: 2-line block ×11, first 2 shown]
	v_add_f16_sdwa v16, v16, v15 dst_sel:DWORD dst_unused:UNUSED_PAD src0_sel:DWORD src1_sel:WORD_1
	v_or_b32_sdwa v15, v20, v22 dst_sel:DWORD dst_unused:UNUSED_PAD src0_sel:DWORD src1_sel:WORD_0
	v_add_f16_e32 v20, v21, v40
	v_fmamk_f16 v21, v38, 0x388b, v26
	v_mul_f16_e32 v22, 0xbb7b, v17
	v_fmac_f16_e32 v24, 0x388b, v37
	v_fma_f16 v26, v38, 0x388b, -v26
	v_mul_f16_e32 v40, 0xbb7b, v39
	v_add_f16_e32 v21, v21, v41
	v_fma_f16 v41, v37, 0xb5ac, -v22
	v_add_f16_e32 v24, v24, v27
	v_add_f16_e32 v26, v26, v28
	v_fmamk_f16 v27, v38, 0xb5ac, v40
	v_mul_f16_e32 v28, 0xb3a8, v17
	v_fmac_f16_e32 v22, 0xb5ac, v37
	v_fma_f16 v40, v38, 0xb5ac, -v40
	v_add_f16_e32 v41, v41, v42
	v_add_f16_e32 v27, v27, v43
	v_fma_f16 v42, v37, 0xbbc4, -v28
	v_mul_f16_e32 v43, 0xb3a8, v39
	v_add_f16_e32 v22, v22, v29
	v_add_f16_e32 v29, v40, v30
	v_mul_f16_e32 v30, 0x394e, v17
	v_add_f16_e32 v40, v42, v44
	v_fmamk_f16 v42, v38, 0xbbc4, v43
	v_fmac_f16_e32 v28, 0xbbc4, v37
	v_fma_f16 v43, v38, 0xbbc4, -v43
	v_fma_f16 v44, v37, 0xb9fd, -v30
	v_mul_f16_e32 v51, 0x394e, v39
	v_add_f16_e32 v42, v42, v45
	v_add_f16_e32 v28, v28, v31
	;; [unrolled: 1-line block ×4, first 2 shown]
	v_fmamk_f16 v43, v38, 0xb9fd, v51
	v_mul_f16_e32 v44, 0x3bf1, v17
	v_fmac_f16_e32 v30, 0xb9fd, v37
	v_mul_f16_e32 v45, 0x3bf1, v39
	v_fma_f16 v46, v38, 0xb9fd, -v51
	v_add_f16_e32 v43, v43, v47
	v_fma_f16 v47, v37, 0x2fb7, -v44
	v_mul_f16_e32 v17, 0x3770, v17
	v_fmac_f16_e32 v44, 0x2fb7, v37
	v_add_f16_e32 v30, v30, v33
	v_fmamk_f16 v33, v38, 0x2fb7, v45
	v_add_f16_e32 v34, v46, v34
	v_add_f16_e32 v46, v47, v48
	v_fma_f16 v47, v37, 0x3b15, -v17
	v_add_f16_e32 v23, v44, v23
	v_sub_f16_sdwa v44, v18, v19 dst_sel:DWORD dst_unused:UNUSED_PAD src0_sel:WORD_1 src1_sel:WORD_1
	v_add_f16_e32 v33, v33, v49
	v_fma_f16 v45, v38, 0x2fb7, -v45
	v_mul_f16_e32 v39, 0x3770, v39
	v_add_f16_e32 v36, v47, v36
	v_add_f16_e32 v47, v19, v18
	v_mul_f16_e32 v48, 0xbbf1, v44
	v_sub_f16_e32 v49, v18, v19
	v_add_f16_e32 v35, v45, v35
	v_fmamk_f16 v45, v38, 0x3b15, v39
	v_fmac_f16_e32 v17, 0x3b15, v37
	v_fma_f16 v37, v38, 0x3b15, -v39
	v_add_f16_sdwa v18, v19, v18 dst_sel:DWORD dst_unused:UNUSED_PAD src0_sel:WORD_1 src1_sel:WORD_1
	v_fma_f16 v19, v47, 0x2fb7, -v48
	v_mul_f16_e32 v38, 0xbbf1, v49
	v_add_f16_e32 v17, v17, v25
	v_add_f16_e32 v16, v37, v16
	v_mul_f16_e32 v25, 0xb3a8, v44
	v_add_f16_e32 v19, v19, v20
	v_fmamk_f16 v20, v18, 0x2fb7, v38
	v_fma_f16 v37, v18, 0x2fb7, -v38
	v_mul_f16_e32 v38, 0xb3a8, v49
	v_add_f16_e32 v39, v45, v50
	v_mul_f16_e32 v45, 0x3b7b, v44
	v_add_f16_e32 v20, v20, v21
	v_fma_f16 v21, v47, 0xbbc4, -v25
	v_add_f16_e32 v26, v37, v26
	v_fmamk_f16 v37, v18, 0xbbc4, v38
	v_fmac_f16_e32 v25, 0xbbc4, v47
	v_fma_f16 v38, v18, 0xbbc4, -v38
	v_fmac_f16_e32 v48, 0x2fb7, v47
	v_add_f16_e32 v21, v21, v41
	v_add_f16_e32 v27, v37, v27
	v_fma_f16 v37, v47, 0xb5ac, -v45
	v_mul_f16_e32 v41, 0x3b7b, v49
	v_add_f16_e32 v22, v25, v22
	v_add_f16_e32 v25, v38, v29
	v_mul_f16_e32 v29, 0x3770, v44
	v_add_f16_e32 v24, v48, v24
	v_add_f16_e32 v37, v37, v40
	v_fmamk_f16 v38, v18, 0xb5ac, v41
	v_fma_f16 v40, v18, 0xb5ac, -v41
	v_fma_f16 v41, v47, 0x3b15, -v29
	v_mul_f16_e32 v48, 0x3770, v49
	v_fmac_f16_e32 v29, 0x3b15, v47
	v_add_f16_e32 v38, v38, v42
	v_add_f16_e32 v31, v40, v31
	;; [unrolled: 1-line block ×3, first 2 shown]
	v_fmamk_f16 v40, v18, 0x3b15, v48
	v_mul_f16_e32 v41, 0xba95, v44
	v_mul_f16_e32 v42, 0xba95, v49
	v_fmac_f16_e32 v45, 0xb5ac, v47
	v_add_f16_e32 v29, v29, v30
	v_add_f16_e32 v40, v40, v43
	v_fma_f16 v43, v47, 0x388b, -v41
	v_fmamk_f16 v30, v18, 0x388b, v42
	v_mul_f16_e32 v44, 0xb94e, v44
	v_fmac_f16_e32 v41, 0x388b, v47
	v_add_f16_e32 v28, v45, v28
	v_fma_f16 v45, v18, 0x3b15, -v48
	v_add_f16_e32 v30, v30, v33
	v_fma_f16 v33, v18, 0x388b, -v42
	v_fma_f16 v42, v47, 0xb9fd, -v44
	v_add_f16_e32 v23, v41, v23
	v_sub_f16_sdwa v41, v3, v6 dst_sel:DWORD dst_unused:UNUSED_PAD src0_sel:WORD_1 src1_sel:WORD_1
	v_add_f16_e32 v34, v45, v34
	v_add_f16_e32 v43, v43, v46
	v_mul_f16_e32 v45, 0xb94e, v49
	v_add_f16_e32 v33, v33, v35
	v_add_f16_e32 v35, v42, v36
	;; [unrolled: 1-line block ×3, first 2 shown]
	v_mul_f16_e32 v46, 0xbb7b, v41
	v_sub_f16_e32 v48, v3, v6
	v_fmamk_f16 v36, v18, 0xb9fd, v45
	v_fmac_f16_e32 v44, 0xb9fd, v47
	v_fma_f16 v18, v18, 0xb9fd, -v45
	v_add_f16_sdwa v3, v6, v3 dst_sel:DWORD dst_unused:UNUSED_PAD src0_sel:WORD_1 src1_sel:WORD_1
	v_fma_f16 v6, v42, 0xb5ac, -v46
	v_mul_f16_e32 v45, 0xbb7b, v48
	v_add_f16_e32 v36, v36, v39
	v_add_f16_e32 v17, v44, v17
	;; [unrolled: 1-line block ×4, first 2 shown]
	v_fmamk_f16 v18, v3, 0xb5ac, v45
	v_mul_f16_e32 v19, 0x394e, v41
	v_fma_f16 v39, v3, 0xb5ac, -v45
	v_mul_f16_e32 v44, 0x394e, v48
	v_mul_f16_e32 v45, 0x3770, v41
	v_add_f16_e32 v18, v18, v20
	v_fma_f16 v20, v42, 0xb9fd, -v19
	v_add_f16_e32 v26, v39, v26
	v_fmamk_f16 v39, v3, 0xb9fd, v44
	v_fmac_f16_e32 v19, 0xb9fd, v42
	v_fmac_f16_e32 v46, 0xb5ac, v42
	v_add_f16_e32 v20, v20, v21
	v_fma_f16 v21, v3, 0xb9fd, -v44
	v_add_f16_e32 v27, v39, v27
	v_fma_f16 v39, v42, 0x3b15, -v45
	v_mul_f16_e32 v44, 0x3770, v48
	v_add_f16_e32 v19, v19, v22
	v_mul_f16_e32 v22, 0xbbf1, v41
	v_add_f16_e32 v24, v46, v24
	v_add_f16_e32 v21, v21, v25
	;; [unrolled: 1-line block ×3, first 2 shown]
	v_fmamk_f16 v37, v3, 0x3b15, v44
	v_fma_f16 v39, v3, 0x3b15, -v44
	v_fma_f16 v44, v42, 0x2fb7, -v22
	v_mul_f16_e32 v46, 0xbbf1, v48
	v_fmac_f16_e32 v22, 0x2fb7, v42
	v_add_f16_e32 v37, v37, v38
	v_add_f16_e32 v31, v39, v31
	;; [unrolled: 1-line block ×3, first 2 shown]
	v_fmamk_f16 v38, v3, 0x2fb7, v46
	v_mul_f16_e32 v39, 0x33a8, v41
	v_mul_f16_e32 v44, 0x33a8, v48
	v_fmac_f16_e32 v45, 0x3b15, v42
	v_add_f16_e32 v22, v22, v29
	v_add_f16_e32 v38, v38, v40
	v_fma_f16 v40, v42, 0xbbc4, -v39
	v_fmamk_f16 v29, v3, 0xbbc4, v44
	v_mul_f16_e32 v41, 0x3a95, v41
	v_fmac_f16_e32 v39, 0xbbc4, v42
	v_add_f16_e32 v28, v45, v28
	v_fma_f16 v45, v3, 0x2fb7, -v46
	v_add_f16_e32 v40, v40, v43
	v_add_f16_e32 v29, v29, v30
	v_fma_f16 v30, v3, 0xbbc4, -v44
	v_fma_f16 v43, v42, 0x388b, -v41
	v_add_f16_e32 v23, v39, v23
	v_sub_f16_sdwa v39, v4, v5 dst_sel:DWORD dst_unused:UNUSED_PAD src0_sel:WORD_1 src1_sel:WORD_1
	v_add_f16_e32 v34, v45, v34
	v_mul_f16_e32 v44, 0x3a95, v48
	v_add_f16_e32 v30, v30, v33
	v_add_f16_e32 v33, v43, v35
	;; [unrolled: 1-line block ×3, first 2 shown]
	v_mul_f16_e32 v45, 0xb94e, v39
	v_sub_f16_e32 v46, v4, v5
	v_fmamk_f16 v35, v3, 0x388b, v44
	v_fmac_f16_e32 v41, 0x388b, v42
	v_fma_f16 v3, v3, 0x388b, -v44
	v_add_f16_sdwa v4, v5, v4 dst_sel:DWORD dst_unused:UNUSED_PAD src0_sel:WORD_1 src1_sel:WORD_1
	v_fma_f16 v5, v43, 0xb9fd, -v45
	v_mul_f16_e32 v42, 0xb94e, v46
	v_add_f16_e32 v35, v35, v36
	v_add_f16_e32 v3, v3, v16
	v_mul_f16_e32 v16, 0x3bf1, v39
	v_add_f16_e32 v5, v5, v6
	v_fmamk_f16 v6, v4, 0xb9fd, v42
	v_add_f16_e32 v17, v41, v17
	v_fma_f16 v36, v4, 0xb9fd, -v42
	v_mul_f16_e32 v41, 0x3bf1, v46
	v_mul_f16_e32 v42, 0xba95, v39
	v_add_f16_e32 v6, v6, v18
	v_fma_f16 v18, v43, 0x2fb7, -v16
	v_add_f16_e32 v26, v36, v26
	v_fmamk_f16 v36, v4, 0x2fb7, v41
	v_fmac_f16_e32 v16, 0x2fb7, v43
	v_mul_f16_e32 v44, 0x33a8, v46
	v_add_f16_e32 v18, v18, v20
	v_fma_f16 v20, v4, 0x2fb7, -v41
	v_add_f16_e32 v27, v36, v27
	v_fma_f16 v36, v43, 0x388b, -v42
	v_mul_f16_e32 v41, 0xba95, v46
	v_add_f16_e32 v16, v16, v19
	v_add_f16_e32 v19, v20, v21
	v_mul_f16_e32 v20, 0x33a8, v39
	v_add_f16_e32 v21, v36, v25
	v_fmamk_f16 v25, v4, 0x388b, v41
	v_fma_f16 v36, v4, 0x388b, -v41
	v_fmac_f16_e32 v42, 0x388b, v43
	v_fma_f16 v41, v43, 0xbbc4, -v20
	v_fmac_f16_e32 v20, 0xbbc4, v43
	v_add_f16_e32 v25, v25, v37
	v_add_f16_e32 v31, v36, v31
	v_fmamk_f16 v36, v4, 0xbbc4, v44
	v_add_f16_e32 v32, v41, v32
	v_mul_f16_e32 v37, 0x3770, v39
	v_mul_f16_e32 v41, 0x3770, v46
	v_add_f16_e32 v20, v20, v22
	v_add_f16_e32 v36, v36, v38
	v_mul_f16_e32 v39, 0xbb7b, v39
	v_fma_f16 v38, v43, 0x3b15, -v37
	v_fmamk_f16 v22, v4, 0x3b15, v41
	v_fmac_f16_e32 v37, 0x3b15, v43
	v_add_f16_e32 v28, v42, v28
	v_fma_f16 v42, v4, 0xbbc4, -v44
	v_add_f16_e32 v38, v38, v40
	v_add_f16_e32 v22, v22, v29
	v_fma_f16 v29, v4, 0x3b15, -v41
	v_fma_f16 v40, v43, 0xb5ac, -v39
	v_add_f16_e32 v23, v37, v23
	v_sub_f16_sdwa v37, v1, v2 dst_sel:DWORD dst_unused:UNUSED_PAD src0_sel:WORD_1 src1_sel:WORD_1
	v_add_f16_e32 v34, v42, v34
	v_mul_f16_e32 v41, 0xbb7b, v46
	v_add_f16_e32 v29, v29, v30
	v_add_f16_e32 v30, v40, v33
	;; [unrolled: 1-line block ×3, first 2 shown]
	v_mul_f16_e32 v42, 0xb3a8, v37
	v_sub_f16_e32 v44, v1, v2
	v_fmamk_f16 v33, v4, 0xb5ac, v41
	v_fma_f16 v4, v4, 0xb5ac, -v41
	v_add_f16_sdwa v1, v2, v1 dst_sel:DWORD dst_unused:UNUSED_PAD src0_sel:WORD_1 src1_sel:WORD_1
	v_fma_f16 v2, v40, 0xbbc4, -v42
	v_mul_f16_e32 v41, 0xb3a8, v44
	v_fmac_f16_e32 v39, 0xb5ac, v43
	v_add_f16_e32 v3, v4, v3
	v_add_f16_e32 v33, v33, v35
	;; [unrolled: 1-line block ×3, first 2 shown]
	v_fmamk_f16 v4, v1, 0xbbc4, v41
	v_mul_f16_e32 v5, 0x3770, v37
	v_add_f16_e32 v17, v39, v17
	v_fma_f16 v35, v1, 0xbbc4, -v41
	v_mul_f16_e32 v39, 0x3770, v44
	v_add_f16_e32 v4, v4, v6
	v_fma_f16 v6, v40, 0x3b15, -v5
	v_fmac_f16_e32 v45, 0xb9fd, v43
	v_add_f16_e32 v26, v35, v26
	v_fmamk_f16 v35, v1, 0x3b15, v39
	v_mul_f16_e32 v41, 0xb94e, v37
	v_add_f16_e32 v6, v6, v18
	v_fmac_f16_e32 v5, 0x3b15, v40
	v_fma_f16 v18, v1, 0x3b15, -v39
	v_add_f16_e32 v24, v45, v24
	v_fmac_f16_e32 v42, 0xbbc4, v40
	v_add_f16_e32 v27, v35, v27
	v_fma_f16 v35, v40, 0xb9fd, -v41
	v_mul_f16_e32 v39, 0xb94e, v44
	v_add_f16_e32 v5, v5, v16
	v_add_f16_e32 v16, v18, v19
	v_mul_f16_e32 v18, 0x3a95, v37
	v_add_f16_e32 v24, v42, v24
	v_add_f16_e32 v19, v35, v21
	v_fmamk_f16 v21, v1, 0xb9fd, v39
	v_fmac_f16_e32 v41, 0xb9fd, v40
	v_fma_f16 v35, v1, 0xb9fd, -v39
	v_fma_f16 v39, v40, 0x388b, -v18
	v_mul_f16_e32 v42, 0x3a95, v44
	v_add_f16_e32 v21, v21, v25
	v_add_f16_e32 v25, v41, v28
	;; [unrolled: 1-line block ×4, first 2 shown]
	v_fmamk_f16 v32, v1, 0x388b, v42
	v_mul_f16_e32 v35, 0xbb7b, v37
	v_fmac_f16_e32 v18, 0x388b, v40
	v_fma_f16 v39, v1, 0x388b, -v42
	v_mul_f16_e32 v41, 0xbb7b, v44
	v_add_f16_e32 v32, v32, v36
	v_fma_f16 v36, v40, 0xb5ac, -v35
	v_add_f16_e32 v18, v18, v20
	v_add_f16_e32 v20, v39, v34
	v_fmamk_f16 v34, v1, 0xb5ac, v41
	v_fmac_f16_e32 v35, 0xb5ac, v40
	v_add_f16_e32 v36, v36, v38
	v_mul_f16_e32 v37, 0x3bf1, v37
	v_mul_f16_e32 v38, 0x3bf1, v44
	v_add_f16_e32 v22, v34, v22
	v_add_f16_e32 v23, v35, v23
	v_fma_f16 v34, v1, 0xb5ac, -v41
	v_fma_f16 v35, v40, 0x2fb7, -v37
	v_fmamk_f16 v39, v1, 0x2fb7, v38
	v_fmac_f16_e32 v37, 0x2fb7, v40
	v_fma_f16 v1, v1, 0x2fb7, -v38
	v_pack_b32_f16 v2, v2, v4
	v_add_f16_e32 v30, v35, v30
	v_add_f16_e32 v33, v39, v33
	;; [unrolled: 1-line block ×4, first 2 shown]
	v_mad_u32_u24 v3, 0x240, v14, v8
	v_add_f16_e32 v29, v34, v29
	v_pack_b32_f16 v4, v6, v27
	v_pack_b32_f16 v6, v19, v21
	;; [unrolled: 1-line block ×3, first 2 shown]
	v_add_nc_u32_e32 v17, s23, v7
	v_pack_b32_f16 v19, v31, v32
	v_pack_b32_f16 v21, v36, v22
	ds_write2_b32 v3, v15, v2 offset1:12
	ds_write2_b32 v3, v4, v6 offset0:24 offset1:36
	ds_write2_b32 v3, v19, v21 offset0:48 offset1:60
	v_cmp_gt_u32_e32 vcc_lo, s33, v17
	v_pack_b32_f16 v2, v30, v33
	v_pack_b32_f16 v15, v25, v28
	;; [unrolled: 1-line block ×6, first 2 shown]
	s_or_b32 s10, s12, vcc_lo
	ds_write2_b32 v3, v2, v1 offset0:72 offset1:84
	ds_write2_b32 v3, v4, v6 offset0:96 offset1:108
	;; [unrolled: 1-line block ×3, first 2 shown]
	ds_write_b32 v3, v16 offset:576
	s_waitcnt lgkmcnt(0)
	s_barrier
	buffer_gl0_inv
	s_and_saveexec_b32 s11, s10
	s_cbranch_execz .LBB0_16
; %bb.15:
	v_mul_hi_u32 v1, 0x13b13b14, v14
	s_mul_i32 s7, s7, s3
	v_mul_u32_u24_e32 v1, 13, v1
	v_sub_nc_u32_e32 v3, v14, v1
	v_mul_u32_u24_e32 v1, 12, v3
	v_lshlrev_b32_e32 v1, 2, v1
	s_clause 0x2
	global_load_dwordx4 v[27:30], v1, s[8:9] offset:16
	global_load_dwordx4 v[31:34], v1, s[8:9]
	global_load_dwordx4 v[35:38], v1, s[8:9] offset:32
	ds_read2_b32 v[14:15], v13 offset0:40 offset1:196
	ds_read2_b32 v[24:25], v11 offset0:48 offset1:204
	;; [unrolled: 1-line block ×5, first 2 shown]
	ds_read2_b32 v[1:2], v8 offset1:156
	ds_read_b32 v19, v8 offset:7488
	ds_read_u16 v22, v8 offset:2498
	s_mul_hi_u32 s8, s6, s3
	s_mul_i32 s6, s6, s3
	s_add_i32 s7, s8, s7
	s_waitcnt lgkmcnt(7)
	v_lshrrev_b32_e32 v16, 16, v14
	v_lshrrev_b32_e32 v21, 16, v15
	s_waitcnt lgkmcnt(5)
	v_lshrrev_b32_e32 v46, 16, v39
	v_lshrrev_b32_e32 v45, 16, v25
	;; [unrolled: 1-line block ×3, first 2 shown]
	s_waitcnt lgkmcnt(2)
	v_lshrrev_b32_e32 v52, 16, v2
	s_waitcnt lgkmcnt(1)
	v_lshrrev_b32_e32 v53, 16, v19
	v_lshrrev_b32_e32 v50, 16, v41
	;; [unrolled: 1-line block ×5, first 2 shown]
	s_waitcnt vmcnt(2)
	v_mul_f16_sdwa v9, v14, v28 dst_sel:DWORD dst_unused:UNUSED_PAD src0_sel:DWORD src1_sel:WORD_1
	s_waitcnt vmcnt(1)
	v_mul_f16_sdwa v26, v31, v2 dst_sel:DWORD dst_unused:UNUSED_PAD src0_sel:WORD_1 src1_sel:DWORD
	s_waitcnt vmcnt(0)
	v_mul_f16_sdwa v10, v19, v38 dst_sel:DWORD dst_unused:UNUSED_PAD src0_sel:DWORD src1_sel:WORD_1
	v_mul_f16_sdwa v5, v39, v30 dst_sel:DWORD dst_unused:UNUSED_PAD src0_sel:DWORD src1_sel:WORD_1
	;; [unrolled: 1-line block ×3, first 2 shown]
	v_mul_f16_sdwa v13, v34, v24 dst_sel:DWORD dst_unused:UNUSED_PAD src0_sel:WORD_1 src1_sel:DWORD
	s_waitcnt lgkmcnt(0)
	v_mul_f16_sdwa v57, v22, v34 dst_sel:DWORD dst_unused:UNUSED_PAD src0_sel:DWORD src1_sel:WORD_1
	v_mul_f16_sdwa v23, v32, v41 dst_sel:DWORD dst_unused:UNUSED_PAD src0_sel:WORD_1 src1_sel:DWORD
	v_mul_f16_sdwa v11, v44, v37 dst_sel:DWORD dst_unused:UNUSED_PAD src0_sel:DWORD src1_sel:WORD_1
	v_mul_f16_sdwa v63, v31, v52 dst_sel:DWORD dst_unused:UNUSED_PAD src0_sel:WORD_1 src1_sel:DWORD
	v_mul_f16_sdwa v64, v53, v38 dst_sel:DWORD dst_unused:UNUSED_PAD src0_sel:DWORD src1_sel:WORD_1
	v_fmac_f16_e32 v26, v31, v52
	v_fmac_f16_e32 v10, v53, v38
	v_mul_f16_sdwa v8, v15, v29 dst_sel:DWORD dst_unused:UNUSED_PAD src0_sel:DWORD src1_sel:WORD_1
	v_mul_f16_sdwa v18, v16, v28 dst_sel:DWORD dst_unused:UNUSED_PAD src0_sel:DWORD src1_sel:WORD_1
	v_mul_f16_sdwa v54, v21, v29 dst_sel:DWORD dst_unused:UNUSED_PAD src0_sel:DWORD src1_sel:WORD_1
	v_mul_f16_sdwa v12, v25, v27 dst_sel:DWORD dst_unused:UNUSED_PAD src0_sel:DWORD src1_sel:WORD_1
	v_mul_f16_sdwa v55, v45, v27 dst_sel:DWORD dst_unused:UNUSED_PAD src0_sel:DWORD src1_sel:WORD_1
	v_mul_f16_sdwa v4, v40, v35 dst_sel:DWORD dst_unused:UNUSED_PAD src0_sel:DWORD src1_sel:WORD_1
	v_mul_f16_sdwa v58, v47, v35 dst_sel:DWORD dst_unused:UNUSED_PAD src0_sel:DWORD src1_sel:WORD_1
	v_mul_f16_sdwa v61, v32, v50 dst_sel:DWORD dst_unused:UNUSED_PAD src0_sel:WORD_1 src1_sel:DWORD
	v_mul_f16_sdwa v62, v51, v37 dst_sel:DWORD dst_unused:UNUSED_PAD src0_sel:DWORD src1_sel:WORD_1
	v_fmac_f16_e32 v9, v16, v28
	v_fmac_f16_e32 v5, v46, v30
	v_fma_f16 v16, v39, v30, -v56
	v_fmac_f16_e32 v13, v22, v34
	v_fma_f16 v22, v34, v24, -v57
	v_fmac_f16_e32 v23, v32, v50
	v_fmac_f16_e32 v11, v51, v37
	v_fma_f16 v30, v31, v2, -v63
	v_fma_f16 v2, v19, v38, -v64
	v_sub_f16_e32 v34, v26, v10
	v_mul_f16_sdwa v17, v33, v42 dst_sel:DWORD dst_unused:UNUSED_PAD src0_sel:WORD_1 src1_sel:DWORD
	v_mul_f16_sdwa v59, v33, v48 dst_sel:DWORD dst_unused:UNUSED_PAD src0_sel:WORD_1 src1_sel:DWORD
	v_fma_f16 v20, v14, v28, -v18
	v_fma_f16 v18, v15, v29, -v54
	v_fmac_f16_e32 v8, v21, v29
	v_fmac_f16_e32 v12, v45, v27
	v_fma_f16 v21, v25, v27, -v55
	v_fmac_f16_e32 v4, v47, v35
	v_fma_f16 v15, v40, v35, -v58
	v_fma_f16 v29, v32, v41, -v61
	;; [unrolled: 1-line block ×3, first 2 shown]
	v_add_f16_e32 v35, v26, v10
	v_sub_f16_e32 v32, v23, v11
	v_add_f16_e32 v27, v30, v2
	v_mul_f16_e32 v53, 0xb3a8, v34
	v_fmac_f16_e32 v17, v33, v48
	v_fma_f16 v25, v33, v42, -v59
	v_add_f16_e32 v33, v23, v11
	v_sub_f16_e32 v31, v30, v2
	v_add_f16_e32 v24, v29, v14
	v_mul_f16_e32 v51, 0xbbc4, v35
	v_mul_f16_e32 v52, 0x3770, v32
	v_fmamk_f16 v74, v27, 0xbbc4, v53
	v_sub_f16_e32 v28, v29, v14
	v_mul_f16_e32 v50, 0x3b15, v33
	v_mul_f16_e32 v55, 0xb9fd, v35
	v_fmamk_f16 v72, v31, 0x33a8, v51
	v_fmamk_f16 v73, v24, 0x3b15, v52
	v_fma_f16 v53, v27, 0xbbc4, -v53
	v_add_f16_e32 v74, v74, v1
	v_mul_f16_e32 v54, 0x2fb7, v33
	v_mul_f16_e32 v57, 0xb94e, v34
	v_fmamk_f16 v71, v28, 0xb770, v50
	v_fmac_f16_e32 v51, 0xb3a8, v31
	v_add_f16_sdwa v72, v72, v1 dst_sel:DWORD dst_unused:UNUSED_PAD src0_sel:DWORD src1_sel:WORD_1
	v_fma_f16 v52, v24, 0x3b15, -v52
	v_add_f16_e32 v53, v53, v1
	v_add_f16_e32 v73, v73, v74
	v_fmamk_f16 v74, v31, 0x394e, v55
	v_mul_f16_e32 v56, 0x3bf1, v32
	v_mul_f16_e32 v59, 0xb5ac, v35
	v_fmac_f16_e32 v50, 0x3770, v28
	v_add_f16_sdwa v51, v51, v1 dst_sel:DWORD dst_unused:UNUSED_PAD src0_sel:DWORD src1_sel:WORD_1
	v_add_f16_e32 v71, v71, v72
	v_fmamk_f16 v72, v28, 0xbbf1, v54
	v_add_f16_e32 v52, v52, v53
	v_fmamk_f16 v53, v27, 0xb9fd, v57
	v_fmac_f16_e32 v55, 0xb94e, v31
	v_add_f16_sdwa v74, v74, v1 dst_sel:DWORD dst_unused:UNUSED_PAD src0_sel:DWORD src1_sel:WORD_1
	v_mul_f16_sdwa v60, v49, v36 dst_sel:DWORD dst_unused:UNUSED_PAD src0_sel:DWORD src1_sel:WORD_1
	v_mul_f16_e32 v58, 0xb9fd, v33
	v_mul_f16_e32 v61, 0xbb7b, v34
	v_add_f16_e32 v50, v50, v51
	v_fmamk_f16 v51, v24, 0x2fb7, v56
	v_fmac_f16_e32 v54, 0x3bf1, v28
	v_fma_f16 v57, v27, 0xb9fd, -v57
	v_add_f16_e32 v53, v53, v1
	v_add_f16_sdwa v55, v55, v1 dst_sel:DWORD dst_unused:UNUSED_PAD src0_sel:DWORD src1_sel:WORD_1
	v_add_f16_e32 v72, v72, v74
	v_fmamk_f16 v74, v31, 0x3b7b, v59
	v_fma_f16 v19, v43, v36, -v60
	v_mul_f16_e32 v60, 0x394e, v32
	v_mul_f16_e32 v62, 0x2fb7, v35
	v_fma_f16 v56, v24, 0x2fb7, -v56
	v_add_f16_e32 v57, v57, v1
	v_add_f16_e32 v51, v51, v53
	v_fmamk_f16 v53, v28, 0xb94e, v58
	v_add_f16_e32 v54, v54, v55
	v_fmamk_f16 v55, v27, 0xb5ac, v61
	v_fmac_f16_e32 v59, 0xbb7b, v31
	v_add_f16_sdwa v74, v74, v1 dst_sel:DWORD dst_unused:UNUSED_PAD src0_sel:DWORD src1_sel:WORD_1
	v_mul_f16_e32 v63, 0xbbc4, v33
	v_mul_f16_e32 v64, 0xbbf1, v34
	v_add_f16_e32 v56, v56, v57
	v_fmamk_f16 v57, v24, 0xb9fd, v60
	v_fmac_f16_e32 v58, 0x394e, v28
	v_fma_f16 v61, v27, 0xb5ac, -v61
	v_add_f16_e32 v55, v55, v1
	v_add_f16_sdwa v59, v59, v1 dst_sel:DWORD dst_unused:UNUSED_PAD src0_sel:DWORD src1_sel:WORD_1
	v_add_f16_e32 v53, v53, v74
	v_fmamk_f16 v74, v31, 0x3bf1, v62
	v_mul_f16_sdwa v6, v43, v36 dst_sel:DWORD dst_unused:UNUSED_PAD src0_sel:DWORD src1_sel:WORD_1
	v_mul_f16_e32 v65, 0xb3a8, v32
	v_mul_f16_e32 v66, 0x388b, v35
	v_fma_f16 v60, v24, 0xb9fd, -v60
	v_add_f16_e32 v61, v61, v1
	v_add_f16_e32 v55, v57, v55
	v_fmamk_f16 v57, v28, 0x33a8, v63
	v_add_f16_e32 v58, v58, v59
	v_fmamk_f16 v59, v27, 0x2fb7, v64
	v_add_f16_sdwa v74, v74, v1 dst_sel:DWORD dst_unused:UNUSED_PAD src0_sel:DWORD src1_sel:WORD_1
	v_fma_f16 v64, v27, 0x2fb7, -v64
	v_fmac_f16_e32 v6, v49, v36
	v_mul_f16_e32 v67, 0xb5ac, v33
	v_mul_f16_e32 v68, 0xba95, v34
	v_add_f16_e32 v60, v60, v61
	v_fmamk_f16 v61, v24, 0xbbc4, v65
	v_fma_f16 v65, v24, 0xbbc4, -v65
	v_add_f16_e32 v59, v59, v1
	v_add_f16_e32 v57, v57, v74
	v_fmamk_f16 v74, v31, 0x3a95, v66
	v_add_f16_e32 v64, v64, v1
	v_add_f16_e32 v44, v17, v6
	v_mul_f16_e32 v69, 0xbb7b, v32
	v_fmac_f16_e32 v62, 0xbbf1, v31
	v_add_f16_e32 v59, v61, v59
	v_fmamk_f16 v61, v28, 0x3b7b, v67
	v_add_f16_sdwa v74, v74, v1 dst_sel:DWORD dst_unused:UNUSED_PAD src0_sel:DWORD src1_sel:WORD_1
	v_add_f16_e32 v64, v65, v64
	v_fmamk_f16 v65, v27, 0x388b, v68
	v_sub_f16_e32 v37, v25, v19
	v_sub_f16_e32 v42, v17, v6
	v_mul_f16_e32 v70, 0xb9fd, v44
	v_fmac_f16_e32 v63, 0xb3a8, v28
	v_add_f16_sdwa v62, v62, v1 dst_sel:DWORD dst_unused:UNUSED_PAD src0_sel:DWORD src1_sel:WORD_1
	v_fmac_f16_e32 v66, 0xba95, v31
	v_add_f16_e32 v61, v61, v74
	v_fmamk_f16 v74, v24, 0xb5ac, v69
	v_fma_f16 v68, v27, 0x388b, -v68
	v_add_f16_e32 v65, v65, v1
	v_add_f16_e32 v36, v25, v19
	;; [unrolled: 1-line block ×3, first 2 shown]
	v_mul_f16_e32 v63, 0xb94e, v42
	v_fmac_f16_e32 v67, 0xbb7b, v28
	v_add_f16_sdwa v66, v66, v1 dst_sel:DWORD dst_unused:UNUSED_PAD src0_sel:DWORD src1_sel:WORD_1
	v_fma_f16 v69, v24, 0xb5ac, -v69
	v_add_f16_e32 v68, v68, v1
	v_add_f16_e32 v65, v74, v65
	v_fmamk_f16 v74, v37, 0x394e, v70
	v_add_f16_e32 v66, v67, v66
	v_mul_f16_e32 v67, 0x388b, v44
	v_add_f16_e32 v68, v69, v68
	v_fmamk_f16 v69, v36, 0xb9fd, v63
	v_fmac_f16_e32 v70, 0xb94e, v37
	v_add_f16_e32 v71, v74, v71
	v_mul_f16_e32 v74, 0xba95, v42
	v_fma_f16 v63, v36, 0xb9fd, -v63
	v_add_f16_e32 v69, v69, v73
	v_fmamk_f16 v73, v37, 0x3a95, v67
	v_add_f16_e32 v50, v70, v50
	v_mul_f16_e32 v70, 0x3b15, v44
	v_add_f16_e32 v52, v63, v52
	v_fmamk_f16 v63, v36, 0x388b, v74
	v_fmac_f16_e32 v67, 0xba95, v37
	v_add_f16_e32 v72, v73, v72
	v_mul_f16_e32 v73, 0x3770, v42
	v_fma_f16 v74, v36, 0x388b, -v74
	;; [unrolled: 10-line block ×3, first 2 shown]
	v_add_f16_e32 v55, v74, v55
	v_fmamk_f16 v74, v37, 0xbb7b, v67
	v_add_f16_e32 v58, v70, v58
	v_mul_f16_e32 v70, 0xbbc4, v44
	v_add_f16_e32 v60, v73, v60
	v_fmamk_f16 v73, v36, 0xb5ac, v63
	v_add_f16_e32 v45, v13, v4
	v_sub_f16_e32 v41, v13, v4
	v_fmac_f16_e32 v67, 0x3b7b, v37
	v_add_f16_e32 v57, v74, v57
	v_mul_f16_e32 v74, 0xb3a8, v42
	v_fma_f16 v63, v36, 0xb5ac, -v63
	v_add_f16_e32 v59, v73, v59
	v_fmamk_f16 v73, v37, 0x33a8, v70
	v_sub_f16_e32 v39, v22, v15
	v_add_f16_e32 v38, v22, v15
	v_add_f16_e32 v62, v67, v62
	v_mul_f16_e32 v67, 0x388b, v45
	v_add_f16_e32 v63, v63, v64
	v_fmamk_f16 v64, v36, 0xbbc4, v74
	v_fmac_f16_e32 v70, 0xb3a8, v37
	v_add_f16_e32 v61, v73, v61
	v_mul_f16_e32 v73, 0x3a95, v41
	v_fma_f16 v74, v36, 0xbbc4, -v74
	v_add_f16_e32 v64, v64, v65
	v_fmamk_f16 v65, v39, 0xba95, v67
	v_add_f16_e32 v66, v70, v66
	v_mul_f16_e32 v70, 0xbbc4, v45
	v_add_f16_e32 v68, v74, v68
	v_fmamk_f16 v74, v38, 0x388b, v73
	v_fmac_f16_e32 v67, 0x3a95, v39
	v_add_f16_e32 v65, v65, v71
	v_mul_f16_e32 v71, 0x33a8, v41
	v_fma_f16 v73, v38, 0x388b, -v73
	v_add_f16_e32 v69, v74, v69
	v_fmamk_f16 v74, v39, 0xb3a8, v70
	;; [unrolled: 10-line block ×4, first 2 shown]
	v_add_f16_e32 v46, v12, v5
	v_add_f16_e32 v58, v67, v58
	v_mul_f16_e32 v67, 0xb9fd, v45
	v_add_f16_e32 v60, v74, v60
	v_fmamk_f16 v74, v38, 0x3b15, v73
	v_fmac_f16_e32 v70, 0x3770, v39
	v_add_f16_e32 v57, v71, v57
	v_mul_f16_e32 v71, 0x394e, v41
	v_fma_f16 v73, v38, 0x3b15, -v73
	v_sub_f16_e32 v43, v21, v16
	v_sub_f16_e32 v47, v12, v5
	v_add_f16_e32 v59, v74, v59
	v_fmamk_f16 v74, v39, 0xb94e, v67
	v_add_f16_e32 v62, v70, v62
	v_mul_f16_e32 v70, 0xb5ac, v46
	v_add_f16_e32 v63, v73, v63
	v_fmamk_f16 v73, v38, 0xb9fd, v71
	v_add_f16_e32 v40, v21, v16
	v_fmac_f16_e32 v67, 0x394e, v39
	v_add_f16_e32 v61, v74, v61
	v_mul_f16_e32 v74, 0xbb7b, v47
	v_fma_f16 v71, v38, 0xb9fd, -v71
	v_add_f16_e32 v64, v73, v64
	v_fmamk_f16 v73, v43, 0x3b7b, v70
	v_add_f16_e32 v66, v67, v66
	v_mul_f16_e32 v67, 0x3b15, v46
	v_add_f16_e32 v68, v71, v68
	v_fmamk_f16 v71, v40, 0xb5ac, v74
	v_fmac_f16_e32 v70, 0xbb7b, v43
	v_add_f16_e32 v65, v73, v65
	v_mul_f16_e32 v73, 0x3770, v47
	v_fma_f16 v74, v40, 0xb5ac, -v74
	v_add_f16_e32 v69, v71, v69
	v_fmamk_f16 v71, v43, 0xb770, v67
	v_add_f16_e32 v50, v70, v50
	v_mul_f16_e32 v70, 0xbbc4, v46
	v_add_f16_e32 v52, v74, v52
	v_fmamk_f16 v74, v40, 0x3b15, v73
	v_fmac_f16_e32 v67, 0x3770, v43
	v_add_f16_e32 v71, v71, v72
	v_mul_f16_e32 v72, 0x33a8, v47
	v_fma_f16 v73, v40, 0x3b15, -v73
	v_add_f16_e32 v51, v74, v51
	v_fmamk_f16 v74, v43, 0xb3a8, v70
	v_add_f16_e32 v54, v67, v54
	v_mul_f16_e32 v67, 0x388b, v46
	v_add_f16_e32 v56, v73, v56
	v_fmamk_f16 v73, v40, 0xbbc4, v72
	v_fmac_f16_e32 v70, 0x33a8, v43
	v_add_f16_e32 v53, v74, v53
	v_mul_f16_e32 v74, 0xba95, v47
	v_fma_f16 v72, v40, 0xbbc4, -v72
	v_add_f16_e32 v55, v73, v55
	v_fmamk_f16 v73, v43, 0x3a95, v67
	v_add_f16_e32 v58, v70, v58
	v_mul_f16_e32 v70, 0x2fb7, v46
	v_add_f16_e32 v60, v72, v60
	v_fmamk_f16 v72, v40, 0x388b, v74
	v_add_f16_e32 v48, v9, v8
	v_fmac_f16_e32 v67, 0xba95, v43
	v_add_f16_e32 v57, v73, v57
	v_mul_f16_e32 v73, 0x3bf1, v47
	v_fma_f16 v74, v40, 0x388b, -v74
	v_add_f16_e32 v59, v72, v59
	v_fmamk_f16 v72, v43, 0xbbf1, v70
	v_sub_f16_e32 v49, v20, v18
	v_add_f16_e32 v62, v67, v62
	v_sub_f16_e32 v67, v9, v8
	v_add_f16_e32 v63, v74, v63
	v_fmamk_f16 v74, v40, 0x2fb7, v73
	v_fmac_f16_e32 v70, 0x3bf1, v43
	v_add_f16_e32 v61, v72, v61
	v_mul_f16_e32 v72, 0x2fb7, v48
	v_fma_f16 v73, v40, 0x2fb7, -v73
	v_add_f16_e32 v64, v74, v64
	v_add_f16_e32 v74, v20, v18
	;; [unrolled: 1-line block ×3, first 2 shown]
	v_fmamk_f16 v70, v49, 0xbbf1, v72
	v_add_f16_e32 v68, v73, v68
	v_mul_f16_e32 v73, 0x3bf1, v67
	v_fmac_f16_e32 v72, 0x3bf1, v49
	v_mul_f16_e32 v35, 0x3b15, v35
	v_add_f16_e32 v65, v70, v65
	v_add_f16_sdwa v26, v26, v1 dst_sel:DWORD dst_unused:UNUSED_PAD src0_sel:DWORD src1_sel:WORD_1
	v_fmamk_f16 v70, v74, 0x2fb7, v73
	v_fma_f16 v73, v74, 0x2fb7, -v73
	v_add_f16_e32 v50, v72, v50
	v_add_f16_e32 v30, v30, v1
	v_mul_f16_e32 v33, 0x388b, v33
	v_add_f16_e32 v69, v70, v69
	v_mul_f16_e32 v70, 0xb5ac, v48
	;; [unrolled: 2-line block ×3, first 2 shown]
	v_add_f16_e32 v23, v26, v23
	v_add_f16_e32 v26, v30, v29
	v_fmamk_f16 v72, v49, 0x3b7b, v70
	v_fmac_f16_e32 v70, 0xbb7b, v49
	v_mul_f16_e32 v44, 0x2fb7, v44
	v_add_f16_e32 v17, v23, v17
	v_add_f16_e32 v23, v26, v25
	;; [unrolled: 1-line block ×3, first 2 shown]
	v_fmamk_f16 v72, v74, 0xb5ac, v73
	v_fma_f16 v73, v74, 0xb5ac, -v73
	v_add_f16_e32 v54, v70, v54
	v_mul_f16_e32 v45, 0xb5ac, v45
	v_add_f16_e32 v13, v17, v13
	v_add_f16_e32 v51, v72, v51
	v_mul_f16_e32 v72, 0x388b, v48
	v_add_f16_e32 v56, v73, v56
	v_mul_f16_e32 v73, 0x3a95, v67
	;; [unrolled: 2-line block ×3, first 2 shown]
	v_fmamk_f16 v70, v49, 0xba95, v72
	v_fmac_f16_e32 v72, 0x3a95, v49
	v_add_f16_e32 v12, v13, v12
	v_add_f16_e32 v13, v17, v21
	v_mul_f16_e32 v34, 0xb770, v34
	v_add_f16_e32 v53, v70, v53
	v_fmamk_f16 v70, v74, 0x388b, v73
	v_fma_f16 v73, v74, 0x388b, -v73
	v_add_f16_e32 v58, v72, v58
	v_add_f16_e32 v9, v12, v9
	;; [unrolled: 1-line block ×4, first 2 shown]
	v_mul_f16_e32 v70, 0xb9fd, v48
	v_add_f16_e32 v60, v73, v60
	v_mul_f16_e32 v73, 0xb94e, v67
	v_mul_f16_e32 v32, 0xba95, v32
	v_add_f16_e32 v8, v9, v8
	v_fmamk_f16 v72, v49, 0x394e, v70
	v_fmac_f16_e32 v70, 0xb94e, v49
	v_add_f16_e32 v12, v12, v18
	v_mul_f16_e32 v42, 0xbbf1, v42
	v_fma_f16 v20, v24, 0x388b, -v32
	v_add_f16_e32 v57, v72, v57
	v_fmamk_f16 v72, v74, 0xb9fd, v73
	v_fma_f16 v73, v74, 0xb9fd, -v73
	v_add_f16_e32 v62, v70, v62
	v_add_f16_e32 v5, v8, v5
	;; [unrolled: 1-line block ×4, first 2 shown]
	v_mul_f16_e32 v72, 0x3b15, v48
	v_add_f16_e32 v63, v73, v63
	v_mul_f16_e32 v73, 0x3770, v67
	v_mul_f16_e32 v48, 0xbbc4, v48
	;; [unrolled: 1-line block ×3, first 2 shown]
	v_fmamk_f16 v70, v49, 0xb770, v72
	v_fmac_f16_e32 v72, 0x3770, v49
	v_fma_f16 v16, v36, 0x2fb7, -v42
	v_add_f16_e32 v8, v8, v15
	v_fma_f16 v12, v38, 0xb5ac, -v29
	v_add_f16_e32 v61, v70, v61
	v_fmamk_f16 v70, v74, 0x3b15, v73
	v_add_f16_e32 v66, v72, v66
	v_fmamk_f16 v72, v28, 0x3a95, v33
	v_fmac_f16_e32 v33, 0xba95, v28
	v_fma_f16 v73, v74, 0x3b15, -v73
	v_add_f16_e32 v64, v70, v64
	v_fmamk_f16 v70, v31, 0x3770, v35
	v_fmac_f16_e32 v35, 0xb770, v31
	v_add_f16_e32 v8, v8, v19
	v_add_f16_e32 v68, v73, v68
	v_fmamk_f16 v73, v27, 0x3b15, v34
	v_add_f16_sdwa v70, v70, v1 dst_sel:DWORD dst_unused:UNUSED_PAD src0_sel:DWORD src1_sel:WORD_1
	v_add_f16_sdwa v28, v35, v1 dst_sel:DWORD dst_unused:UNUSED_PAD src0_sel:DWORD src1_sel:WORD_1
	v_mul_f16_e32 v26, 0xb94e, v47
	v_mul_f16_e32 v9, 0xb3a8, v67
	v_fmamk_f16 v25, v38, 0xb5ac, v29
	v_add_f16_e32 v70, v72, v70
	v_fmamk_f16 v72, v37, 0x3bf1, v44
	v_fmac_f16_e32 v44, 0xbbf1, v37
	v_add_f16_e32 v28, v33, v28
	v_fma_f16 v15, v40, 0xb9fd, -v26
	v_fmamk_f16 v18, v74, 0xbbc4, v9
	v_add_f16_e32 v70, v72, v70
	v_fmamk_f16 v72, v39, 0x3b7b, v45
	v_fmac_f16_e32 v45, 0xbb7b, v39
	v_add_f16_e32 v17, v44, v28
	v_fma_f16 v9, v74, 0xbbc4, -v9
	v_fmamk_f16 v23, v40, 0xb9fd, v26
	v_add_f16_e32 v70, v72, v70
	v_fmamk_f16 v72, v43, 0x394e, v46
	v_add_f16_e32 v13, v45, v17
	v_fma_f16 v17, v27, 0x3b15, -v34
	v_fmac_f16_e32 v46, 0xb94e, v43
	v_add_f16_e32 v70, v72, v70
	v_fmamk_f16 v72, v49, 0x33a8, v48
	v_fmac_f16_e32 v48, 0xb3a8, v49
	v_add_f16_e32 v13, v46, v13
	v_add_f16_e32 v70, v72, v70
	;; [unrolled: 1-line block ×5, first 2 shown]
	v_mad_u64_u32 v[4:5], null, s0, v7, 0
	v_fmamk_f16 v73, v24, 0x388b, v32
	v_add_f16_e32 v1, v20, v1
	v_add_f16_e32 v6, v17, v6
	v_pack_b32_f16 v17, v68, v66
	v_add_f16_e32 v72, v73, v72
	v_add_f16_e32 v1, v16, v1
	;; [unrolled: 1-line block ×3, first 2 shown]
	v_fmamk_f16 v73, v36, 0x2fb7, v42
	v_add_f16_e32 v12, v12, v1
	v_mov_b32_e32 v1, v5
	v_add_f16_e32 v5, v8, v14
	v_mul_hi_u32 v8, 0x1a41a42, v0
	v_add_f16_e32 v72, v73, v72
	v_add_f16_e32 v11, v15, v12
	v_mad_u64_u32 v[0:1], null, s1, v7, v[1:2]
	v_add_f16_sdwa v1, v6, v10 dst_sel:WORD_1 dst_unused:UNUSED_PAD src0_sel:DWORD src1_sel:DWORD
	v_add_f16_e32 v2, v5, v2
	v_add_f16_e32 v10, v48, v13
	v_mad_u32_u24 v3, 0xa9, v8, v3
	s_lshl_b64 s[0:1], s[6:7], 2
	v_add_f16_e32 v8, v9, v11
	v_mov_b32_e32 v5, v0
	v_or_b32_sdwa v13, v1, v2 dst_sel:DWORD dst_unused:UNUSED_PAD src0_sel:DWORD src1_sel:WORD_0
	v_mul_lo_u32 v0, v3, s2
	v_mov_b32_e32 v1, 0
	s_add_u32 s3, s18, s0
	v_lshlrev_b64 v[2:3], 2, v[4:5]
	s_mul_i32 s2, s2, 13
	s_addc_u32 s6, s19, s1
	s_lshl_b64 s[0:1], s[4:5], 2
	v_add_f16_e32 v22, v25, v72
	v_lshlrev_b64 v[4:5], 2, v[0:1]
	v_add_nc_u32_e32 v0, s2, v0
	s_add_u32 s0, s3, s0
	s_addc_u32 s1, s6, s1
	v_add_co_u32 v14, vcc_lo, s0, v2
	v_add_co_ci_u32_e32 v15, vcc_lo, s1, v3, vcc_lo
	v_lshlrev_b64 v[2:3], 2, v[0:1]
	v_add_nc_u32_e32 v0, s2, v0
	v_add_co_u32 v4, vcc_lo, v14, v4
	v_add_co_ci_u32_e32 v5, vcc_lo, v15, v5, vcc_lo
	v_lshlrev_b64 v[6:7], 2, v[0:1]
	v_add_nc_u32_e32 v0, s2, v0
	v_add_co_u32 v2, vcc_lo, v14, v2
	v_pack_b32_f16 v16, v8, v10
	v_add_co_ci_u32_e32 v3, vcc_lo, v15, v3, vcc_lo
	v_lshlrev_b64 v[8:9], 2, v[0:1]
	v_add_nc_u32_e32 v0, s2, v0
	v_add_f16_e32 v21, v23, v22
	v_add_co_u32 v6, vcc_lo, v14, v6
	v_add_co_ci_u32_e32 v7, vcc_lo, v15, v7, vcc_lo
	v_lshlrev_b64 v[10:11], 2, v[0:1]
	v_add_nc_u32_e32 v0, s2, v0
	v_add_co_u32 v8, vcc_lo, v14, v8
	v_add_f16_e32 v12, v18, v21
	v_add_co_ci_u32_e32 v9, vcc_lo, v15, v9, vcc_lo
	v_pack_b32_f16 v18, v63, v62
	global_store_dword v[4:5], v13, off
	global_store_dword v[2:3], v16, off
	;; [unrolled: 1-line block ×4, first 2 shown]
	v_lshlrev_b64 v[2:3], 2, v[0:1]
	v_add_nc_u32_e32 v0, s2, v0
	v_add_co_u32 v4, vcc_lo, v14, v10
	v_add_co_ci_u32_e32 v5, vcc_lo, v15, v11, vcc_lo
	v_lshlrev_b64 v[6:7], 2, v[0:1]
	v_add_nc_u32_e32 v0, s2, v0
	v_add_co_u32 v2, vcc_lo, v14, v2
	v_add_co_ci_u32_e32 v3, vcc_lo, v15, v3, vcc_lo
	v_lshlrev_b64 v[8:9], 2, v[0:1]
	v_add_nc_u32_e32 v0, s2, v0
	v_add_co_u32 v6, vcc_lo, v14, v6
	v_pack_b32_f16 v13, v60, v58
	v_add_co_ci_u32_e32 v7, vcc_lo, v15, v7, vcc_lo
	v_lshlrev_b64 v[10:11], 2, v[0:1]
	v_add_nc_u32_e32 v0, s2, v0
	v_pack_b32_f16 v16, v56, v54
	v_add_co_u32 v8, vcc_lo, v14, v8
	v_pack_b32_f16 v17, v52, v50
	v_add_co_ci_u32_e32 v9, vcc_lo, v15, v9, vcc_lo
	v_pack_b32_f16 v18, v69, v65
	global_store_dword v[4:5], v13, off
	global_store_dword v[2:3], v16, off
	;; [unrolled: 1-line block ×4, first 2 shown]
	v_lshlrev_b64 v[2:3], 2, v[0:1]
	v_add_nc_u32_e32 v0, s2, v0
	v_add_co_u32 v4, vcc_lo, v14, v10
	v_add_co_ci_u32_e32 v5, vcc_lo, v15, v11, vcc_lo
	v_lshlrev_b64 v[6:7], 2, v[0:1]
	v_add_nc_u32_e32 v0, s2, v0
	v_add_co_u32 v2, vcc_lo, v14, v2
	v_add_co_ci_u32_e32 v3, vcc_lo, v15, v3, vcc_lo
	;; [unrolled: 4-line block ×3, first 2 shown]
	v_lshlrev_b64 v[0:1], 2, v[0:1]
	v_add_co_u32 v8, vcc_lo, v14, v8
	v_pack_b32_f16 v10, v51, v71
	v_pack_b32_f16 v11, v55, v53
	v_add_co_ci_u32_e32 v9, vcc_lo, v15, v9, vcc_lo
	v_pack_b32_f16 v13, v59, v57
	v_add_co_u32 v0, vcc_lo, v14, v0
	v_pack_b32_f16 v16, v64, v61
	v_add_co_ci_u32_e32 v1, vcc_lo, v15, v1, vcc_lo
	v_pack_b32_f16 v12, v12, v70
	global_store_dword v[4:5], v10, off
	global_store_dword v[2:3], v11, off
	;; [unrolled: 1-line block ×5, first 2 shown]
.LBB0_16:
	s_endpgm
	.section	.rodata,"a",@progbits
	.p2align	6, 0x0
	.amdhsa_kernel fft_rtc_fwd_len169_factors_13_13_wgs_156_tpt_13_half_op_CI_CI_sbrc_unaligned_dirReg
		.amdhsa_group_segment_fixed_size 0
		.amdhsa_private_segment_fixed_size 0
		.amdhsa_kernarg_size 104
		.amdhsa_user_sgpr_count 6
		.amdhsa_user_sgpr_private_segment_buffer 1
		.amdhsa_user_sgpr_dispatch_ptr 0
		.amdhsa_user_sgpr_queue_ptr 0
		.amdhsa_user_sgpr_kernarg_segment_ptr 1
		.amdhsa_user_sgpr_dispatch_id 0
		.amdhsa_user_sgpr_flat_scratch_init 0
		.amdhsa_user_sgpr_private_segment_size 0
		.amdhsa_wavefront_size32 1
		.amdhsa_uses_dynamic_stack 0
		.amdhsa_system_sgpr_private_segment_wavefront_offset 0
		.amdhsa_system_sgpr_workgroup_id_x 1
		.amdhsa_system_sgpr_workgroup_id_y 0
		.amdhsa_system_sgpr_workgroup_id_z 0
		.amdhsa_system_sgpr_workgroup_info 0
		.amdhsa_system_vgpr_workitem_id 0
		.amdhsa_next_free_vgpr 75
		.amdhsa_next_free_sgpr 46
		.amdhsa_reserve_vcc 1
		.amdhsa_reserve_flat_scratch 0
		.amdhsa_float_round_mode_32 0
		.amdhsa_float_round_mode_16_64 0
		.amdhsa_float_denorm_mode_32 3
		.amdhsa_float_denorm_mode_16_64 3
		.amdhsa_dx10_clamp 1
		.amdhsa_ieee_mode 1
		.amdhsa_fp16_overflow 0
		.amdhsa_workgroup_processor_mode 1
		.amdhsa_memory_ordered 1
		.amdhsa_forward_progress 0
		.amdhsa_shared_vgpr_count 0
		.amdhsa_exception_fp_ieee_invalid_op 0
		.amdhsa_exception_fp_denorm_src 0
		.amdhsa_exception_fp_ieee_div_zero 0
		.amdhsa_exception_fp_ieee_overflow 0
		.amdhsa_exception_fp_ieee_underflow 0
		.amdhsa_exception_fp_ieee_inexact 0
		.amdhsa_exception_int_div_zero 0
	.end_amdhsa_kernel
	.text
.Lfunc_end0:
	.size	fft_rtc_fwd_len169_factors_13_13_wgs_156_tpt_13_half_op_CI_CI_sbrc_unaligned_dirReg, .Lfunc_end0-fft_rtc_fwd_len169_factors_13_13_wgs_156_tpt_13_half_op_CI_CI_sbrc_unaligned_dirReg
                                        ; -- End function
	.section	.AMDGPU.csdata,"",@progbits
; Kernel info:
; codeLenInByte = 10792
; NumSgprs: 48
; NumVgprs: 75
; ScratchSize: 0
; MemoryBound: 0
; FloatMode: 240
; IeeeMode: 1
; LDSByteSize: 0 bytes/workgroup (compile time only)
; SGPRBlocks: 5
; VGPRBlocks: 9
; NumSGPRsForWavesPerEU: 48
; NumVGPRsForWavesPerEU: 75
; Occupancy: 12
; WaveLimiterHint : 1
; COMPUTE_PGM_RSRC2:SCRATCH_EN: 0
; COMPUTE_PGM_RSRC2:USER_SGPR: 6
; COMPUTE_PGM_RSRC2:TRAP_HANDLER: 0
; COMPUTE_PGM_RSRC2:TGID_X_EN: 1
; COMPUTE_PGM_RSRC2:TGID_Y_EN: 0
; COMPUTE_PGM_RSRC2:TGID_Z_EN: 0
; COMPUTE_PGM_RSRC2:TIDIG_COMP_CNT: 0
	.text
	.p2alignl 6, 3214868480
	.fill 48, 4, 3214868480
	.type	__hip_cuid_12a6aef845220e94,@object ; @__hip_cuid_12a6aef845220e94
	.section	.bss,"aw",@nobits
	.globl	__hip_cuid_12a6aef845220e94
__hip_cuid_12a6aef845220e94:
	.byte	0                               ; 0x0
	.size	__hip_cuid_12a6aef845220e94, 1

	.ident	"AMD clang version 19.0.0git (https://github.com/RadeonOpenCompute/llvm-project roc-6.4.0 25133 c7fe45cf4b819c5991fe208aaa96edf142730f1d)"
	.section	".note.GNU-stack","",@progbits
	.addrsig
	.addrsig_sym __hip_cuid_12a6aef845220e94
	.amdgpu_metadata
---
amdhsa.kernels:
  - .args:
      - .actual_access:  read_only
        .address_space:  global
        .offset:         0
        .size:           8
        .value_kind:     global_buffer
      - .offset:         8
        .size:           8
        .value_kind:     by_value
      - .actual_access:  read_only
        .address_space:  global
        .offset:         16
        .size:           8
        .value_kind:     global_buffer
      - .actual_access:  read_only
        .address_space:  global
        .offset:         24
        .size:           8
        .value_kind:     global_buffer
      - .actual_access:  read_only
        .address_space:  global
        .offset:         32
        .size:           8
        .value_kind:     global_buffer
      - .offset:         40
        .size:           8
        .value_kind:     by_value
      - .actual_access:  read_only
        .address_space:  global
        .offset:         48
        .size:           8
        .value_kind:     global_buffer
      - .actual_access:  read_only
        .address_space:  global
        .offset:         56
        .size:           8
        .value_kind:     global_buffer
      - .offset:         64
        .size:           4
        .value_kind:     by_value
      - .actual_access:  read_only
        .address_space:  global
        .offset:         72
        .size:           8
        .value_kind:     global_buffer
      - .actual_access:  read_only
        .address_space:  global
        .offset:         80
        .size:           8
        .value_kind:     global_buffer
      - .actual_access:  read_only
        .address_space:  global
        .offset:         88
        .size:           8
        .value_kind:     global_buffer
      - .actual_access:  write_only
        .address_space:  global
        .offset:         96
        .size:           8
        .value_kind:     global_buffer
    .group_segment_fixed_size: 0
    .kernarg_segment_align: 8
    .kernarg_segment_size: 104
    .language:       OpenCL C
    .language_version:
      - 2
      - 0
    .max_flat_workgroup_size: 156
    .name:           fft_rtc_fwd_len169_factors_13_13_wgs_156_tpt_13_half_op_CI_CI_sbrc_unaligned_dirReg
    .private_segment_fixed_size: 0
    .sgpr_count:     48
    .sgpr_spill_count: 0
    .symbol:         fft_rtc_fwd_len169_factors_13_13_wgs_156_tpt_13_half_op_CI_CI_sbrc_unaligned_dirReg.kd
    .uniform_work_group_size: 1
    .uses_dynamic_stack: false
    .vgpr_count:     75
    .vgpr_spill_count: 0
    .wavefront_size: 32
    .workgroup_processor_mode: 1
amdhsa.target:   amdgcn-amd-amdhsa--gfx1030
amdhsa.version:
  - 1
  - 2
...

	.end_amdgpu_metadata
